;; amdgpu-corpus repo=ROCm/rocFFT kind=compiled arch=gfx1201 opt=O3
	.text
	.amdgcn_target "amdgcn-amd-amdhsa--gfx1201"
	.amdhsa_code_object_version 6
	.protected	fft_rtc_back_len1815_factors_11_3_5_11_wgs_165_tpt_165_dp_ip_CI_sbrr_dirReg ; -- Begin function fft_rtc_back_len1815_factors_11_3_5_11_wgs_165_tpt_165_dp_ip_CI_sbrr_dirReg
	.globl	fft_rtc_back_len1815_factors_11_3_5_11_wgs_165_tpt_165_dp_ip_CI_sbrr_dirReg
	.p2align	8
	.type	fft_rtc_back_len1815_factors_11_3_5_11_wgs_165_tpt_165_dp_ip_CI_sbrr_dirReg,@function
fft_rtc_back_len1815_factors_11_3_5_11_wgs_165_tpt_165_dp_ip_CI_sbrr_dirReg: ; @fft_rtc_back_len1815_factors_11_3_5_11_wgs_165_tpt_165_dp_ip_CI_sbrr_dirReg
; %bb.0:
	s_clause 0x2
	s_load_b64 s[12:13], s[0:1], 0x18
	s_load_b128 s[4:7], s[0:1], 0x0
	s_load_b64 s[10:11], s[0:1], 0x50
	v_mul_u32_u24_e32 v1, 0x18e, v0
	v_mov_b32_e32 v3, 0
	s_delay_alu instid0(VALU_DEP_2) | instskip(NEXT) | instid1(VALU_DEP_1)
	v_lshrrev_b32_e32 v1, 16, v1
	v_add_nc_u32_e32 v5, ttmp9, v1
	v_mov_b32_e32 v1, 0
	v_mov_b32_e32 v2, 0
	;; [unrolled: 1-line block ×3, first 2 shown]
	s_wait_kmcnt 0x0
	s_load_b64 s[8:9], s[12:13], 0x0
	v_cmp_lt_u64_e64 s2, s[6:7], 2
	s_delay_alu instid0(VALU_DEP_1)
	s_and_b32 vcc_lo, exec_lo, s2
	s_cbranch_vccnz .LBB0_8
; %bb.1:
	s_load_b64 s[2:3], s[0:1], 0x10
	v_mov_b32_e32 v1, 0
	v_mov_b32_e32 v2, 0
	s_add_nc_u64 s[14:15], s[12:13], 8
	s_mov_b64 s[16:17], 1
	s_wait_kmcnt 0x0
	s_add_nc_u64 s[18:19], s[2:3], 8
	s_mov_b32 s3, 0
.LBB0_2:                                ; =>This Inner Loop Header: Depth=1
	s_load_b64 s[20:21], s[18:19], 0x0
                                        ; implicit-def: $vgpr7_vgpr8
	s_mov_b32 s2, exec_lo
	s_wait_kmcnt 0x0
	v_or_b32_e32 v4, s21, v6
	s_delay_alu instid0(VALU_DEP_1)
	v_cmpx_ne_u64_e32 0, v[3:4]
	s_wait_alu 0xfffe
	s_xor_b32 s22, exec_lo, s2
	s_cbranch_execz .LBB0_4
; %bb.3:                                ;   in Loop: Header=BB0_2 Depth=1
	s_cvt_f32_u32 s2, s20
	s_cvt_f32_u32 s23, s21
	s_sub_nc_u64 s[26:27], 0, s[20:21]
	s_wait_alu 0xfffe
	s_delay_alu instid0(SALU_CYCLE_1) | instskip(SKIP_1) | instid1(SALU_CYCLE_2)
	s_fmamk_f32 s2, s23, 0x4f800000, s2
	s_wait_alu 0xfffe
	v_s_rcp_f32 s2, s2
	s_delay_alu instid0(TRANS32_DEP_1) | instskip(SKIP_1) | instid1(SALU_CYCLE_2)
	s_mul_f32 s2, s2, 0x5f7ffffc
	s_wait_alu 0xfffe
	s_mul_f32 s23, s2, 0x2f800000
	s_wait_alu 0xfffe
	s_delay_alu instid0(SALU_CYCLE_2) | instskip(SKIP_1) | instid1(SALU_CYCLE_2)
	s_trunc_f32 s23, s23
	s_wait_alu 0xfffe
	s_fmamk_f32 s2, s23, 0xcf800000, s2
	s_cvt_u32_f32 s25, s23
	s_wait_alu 0xfffe
	s_delay_alu instid0(SALU_CYCLE_1) | instskip(SKIP_1) | instid1(SALU_CYCLE_2)
	s_cvt_u32_f32 s24, s2
	s_wait_alu 0xfffe
	s_mul_u64 s[28:29], s[26:27], s[24:25]
	s_wait_alu 0xfffe
	s_mul_hi_u32 s31, s24, s29
	s_mul_i32 s30, s24, s29
	s_mul_hi_u32 s2, s24, s28
	s_mul_i32 s33, s25, s28
	s_wait_alu 0xfffe
	s_add_nc_u64 s[30:31], s[2:3], s[30:31]
	s_mul_hi_u32 s23, s25, s28
	s_mul_hi_u32 s34, s25, s29
	s_add_co_u32 s2, s30, s33
	s_wait_alu 0xfffe
	s_add_co_ci_u32 s2, s31, s23
	s_mul_i32 s28, s25, s29
	s_add_co_ci_u32 s29, s34, 0
	s_wait_alu 0xfffe
	s_add_nc_u64 s[28:29], s[2:3], s[28:29]
	s_wait_alu 0xfffe
	v_add_co_u32 v4, s2, s24, s28
	s_delay_alu instid0(VALU_DEP_1) | instskip(SKIP_1) | instid1(VALU_DEP_1)
	s_cmp_lg_u32 s2, 0
	s_add_co_ci_u32 s25, s25, s29
	v_readfirstlane_b32 s24, v4
	s_wait_alu 0xfffe
	s_delay_alu instid0(VALU_DEP_1)
	s_mul_u64 s[26:27], s[26:27], s[24:25]
	s_wait_alu 0xfffe
	s_mul_hi_u32 s29, s24, s27
	s_mul_i32 s28, s24, s27
	s_mul_hi_u32 s2, s24, s26
	s_mul_i32 s30, s25, s26
	s_wait_alu 0xfffe
	s_add_nc_u64 s[28:29], s[2:3], s[28:29]
	s_mul_hi_u32 s23, s25, s26
	s_mul_hi_u32 s24, s25, s27
	s_wait_alu 0xfffe
	s_add_co_u32 s2, s28, s30
	s_add_co_ci_u32 s2, s29, s23
	s_mul_i32 s26, s25, s27
	s_add_co_ci_u32 s27, s24, 0
	s_wait_alu 0xfffe
	s_add_nc_u64 s[26:27], s[2:3], s[26:27]
	s_wait_alu 0xfffe
	v_add_co_u32 v4, s2, v4, s26
	s_delay_alu instid0(VALU_DEP_1) | instskip(SKIP_1) | instid1(VALU_DEP_1)
	s_cmp_lg_u32 s2, 0
	s_add_co_ci_u32 s2, s25, s27
	v_mul_hi_u32 v13, v5, v4
	s_wait_alu 0xfffe
	v_mad_co_u64_u32 v[7:8], null, v5, s2, 0
	v_mad_co_u64_u32 v[9:10], null, v6, v4, 0
	;; [unrolled: 1-line block ×3, first 2 shown]
	s_delay_alu instid0(VALU_DEP_3) | instskip(SKIP_1) | instid1(VALU_DEP_4)
	v_add_co_u32 v4, vcc_lo, v13, v7
	s_wait_alu 0xfffd
	v_add_co_ci_u32_e32 v7, vcc_lo, 0, v8, vcc_lo
	s_delay_alu instid0(VALU_DEP_2) | instskip(SKIP_1) | instid1(VALU_DEP_2)
	v_add_co_u32 v4, vcc_lo, v4, v9
	s_wait_alu 0xfffd
	v_add_co_ci_u32_e32 v4, vcc_lo, v7, v10, vcc_lo
	s_wait_alu 0xfffd
	v_add_co_ci_u32_e32 v7, vcc_lo, 0, v12, vcc_lo
	s_delay_alu instid0(VALU_DEP_2) | instskip(SKIP_1) | instid1(VALU_DEP_2)
	v_add_co_u32 v4, vcc_lo, v4, v11
	s_wait_alu 0xfffd
	v_add_co_ci_u32_e32 v9, vcc_lo, 0, v7, vcc_lo
	s_delay_alu instid0(VALU_DEP_2) | instskip(SKIP_1) | instid1(VALU_DEP_3)
	v_mul_lo_u32 v10, s21, v4
	v_mad_co_u64_u32 v[7:8], null, s20, v4, 0
	v_mul_lo_u32 v11, s20, v9
	s_delay_alu instid0(VALU_DEP_2) | instskip(NEXT) | instid1(VALU_DEP_2)
	v_sub_co_u32 v7, vcc_lo, v5, v7
	v_add3_u32 v8, v8, v11, v10
	s_delay_alu instid0(VALU_DEP_1) | instskip(SKIP_1) | instid1(VALU_DEP_1)
	v_sub_nc_u32_e32 v10, v6, v8
	s_wait_alu 0xfffd
	v_subrev_co_ci_u32_e64 v10, s2, s21, v10, vcc_lo
	v_add_co_u32 v11, s2, v4, 2
	s_wait_alu 0xf1ff
	v_add_co_ci_u32_e64 v12, s2, 0, v9, s2
	v_sub_co_u32 v13, s2, v7, s20
	v_sub_co_ci_u32_e32 v8, vcc_lo, v6, v8, vcc_lo
	s_wait_alu 0xf1ff
	v_subrev_co_ci_u32_e64 v10, s2, 0, v10, s2
	s_delay_alu instid0(VALU_DEP_3) | instskip(NEXT) | instid1(VALU_DEP_3)
	v_cmp_le_u32_e32 vcc_lo, s20, v13
	v_cmp_eq_u32_e64 s2, s21, v8
	s_wait_alu 0xfffd
	v_cndmask_b32_e64 v13, 0, -1, vcc_lo
	v_cmp_le_u32_e32 vcc_lo, s21, v10
	s_wait_alu 0xfffd
	v_cndmask_b32_e64 v14, 0, -1, vcc_lo
	v_cmp_le_u32_e32 vcc_lo, s20, v7
	;; [unrolled: 3-line block ×3, first 2 shown]
	s_wait_alu 0xfffd
	v_cndmask_b32_e64 v15, 0, -1, vcc_lo
	v_cmp_eq_u32_e32 vcc_lo, s21, v10
	s_wait_alu 0xf1ff
	s_delay_alu instid0(VALU_DEP_2)
	v_cndmask_b32_e64 v7, v15, v7, s2
	s_wait_alu 0xfffd
	v_cndmask_b32_e32 v10, v14, v13, vcc_lo
	v_add_co_u32 v13, vcc_lo, v4, 1
	s_wait_alu 0xfffd
	v_add_co_ci_u32_e32 v14, vcc_lo, 0, v9, vcc_lo
	s_delay_alu instid0(VALU_DEP_3) | instskip(SKIP_2) | instid1(VALU_DEP_3)
	v_cmp_ne_u32_e32 vcc_lo, 0, v10
	s_wait_alu 0xfffd
	v_cndmask_b32_e32 v10, v13, v11, vcc_lo
	v_cndmask_b32_e32 v8, v14, v12, vcc_lo
	v_cmp_ne_u32_e32 vcc_lo, 0, v7
	s_wait_alu 0xfffd
	s_delay_alu instid0(VALU_DEP_2)
	v_dual_cndmask_b32 v7, v4, v10 :: v_dual_cndmask_b32 v8, v9, v8
.LBB0_4:                                ;   in Loop: Header=BB0_2 Depth=1
	s_wait_alu 0xfffe
	s_and_not1_saveexec_b32 s2, s22
	s_cbranch_execz .LBB0_6
; %bb.5:                                ;   in Loop: Header=BB0_2 Depth=1
	v_cvt_f32_u32_e32 v4, s20
	s_sub_co_i32 s22, 0, s20
	s_delay_alu instid0(VALU_DEP_1) | instskip(NEXT) | instid1(TRANS32_DEP_1)
	v_rcp_iflag_f32_e32 v4, v4
	v_mul_f32_e32 v4, 0x4f7ffffe, v4
	s_delay_alu instid0(VALU_DEP_1) | instskip(SKIP_1) | instid1(VALU_DEP_1)
	v_cvt_u32_f32_e32 v4, v4
	s_wait_alu 0xfffe
	v_mul_lo_u32 v7, s22, v4
	s_delay_alu instid0(VALU_DEP_1) | instskip(NEXT) | instid1(VALU_DEP_1)
	v_mul_hi_u32 v7, v4, v7
	v_add_nc_u32_e32 v4, v4, v7
	s_delay_alu instid0(VALU_DEP_1) | instskip(NEXT) | instid1(VALU_DEP_1)
	v_mul_hi_u32 v4, v5, v4
	v_mul_lo_u32 v7, v4, s20
	v_add_nc_u32_e32 v8, 1, v4
	s_delay_alu instid0(VALU_DEP_2) | instskip(NEXT) | instid1(VALU_DEP_1)
	v_sub_nc_u32_e32 v7, v5, v7
	v_subrev_nc_u32_e32 v9, s20, v7
	v_cmp_le_u32_e32 vcc_lo, s20, v7
	s_wait_alu 0xfffd
	s_delay_alu instid0(VALU_DEP_2) | instskip(NEXT) | instid1(VALU_DEP_1)
	v_dual_cndmask_b32 v7, v7, v9 :: v_dual_cndmask_b32 v4, v4, v8
	v_cmp_le_u32_e32 vcc_lo, s20, v7
	s_delay_alu instid0(VALU_DEP_2) | instskip(SKIP_1) | instid1(VALU_DEP_1)
	v_add_nc_u32_e32 v8, 1, v4
	s_wait_alu 0xfffd
	v_dual_cndmask_b32 v7, v4, v8 :: v_dual_mov_b32 v8, v3
.LBB0_6:                                ;   in Loop: Header=BB0_2 Depth=1
	s_wait_alu 0xfffe
	s_or_b32 exec_lo, exec_lo, s2
	s_load_b64 s[22:23], s[14:15], 0x0
	s_delay_alu instid0(VALU_DEP_1)
	v_mul_lo_u32 v4, v8, s20
	v_mul_lo_u32 v11, v7, s21
	v_mad_co_u64_u32 v[9:10], null, v7, s20, 0
	s_add_nc_u64 s[16:17], s[16:17], 1
	s_add_nc_u64 s[14:15], s[14:15], 8
	s_wait_alu 0xfffe
	v_cmp_ge_u64_e64 s2, s[16:17], s[6:7]
	s_add_nc_u64 s[18:19], s[18:19], 8
	s_delay_alu instid0(VALU_DEP_2) | instskip(NEXT) | instid1(VALU_DEP_3)
	v_add3_u32 v4, v10, v11, v4
	v_sub_co_u32 v5, vcc_lo, v5, v9
	s_wait_alu 0xfffd
	s_delay_alu instid0(VALU_DEP_2) | instskip(SKIP_3) | instid1(VALU_DEP_2)
	v_sub_co_ci_u32_e32 v4, vcc_lo, v6, v4, vcc_lo
	s_and_b32 vcc_lo, exec_lo, s2
	s_wait_kmcnt 0x0
	v_mul_lo_u32 v6, s23, v5
	v_mul_lo_u32 v4, s22, v4
	v_mad_co_u64_u32 v[1:2], null, s22, v5, v[1:2]
	s_delay_alu instid0(VALU_DEP_1)
	v_add3_u32 v2, v6, v2, v4
	s_wait_alu 0xfffe
	s_cbranch_vccnz .LBB0_9
; %bb.7:                                ;   in Loop: Header=BB0_2 Depth=1
	v_dual_mov_b32 v5, v7 :: v_dual_mov_b32 v6, v8
	s_branch .LBB0_2
.LBB0_8:
	v_dual_mov_b32 v8, v6 :: v_dual_mov_b32 v7, v5
.LBB0_9:
	s_lshl_b64 s[2:3], s[6:7], 3
	v_mul_hi_u32 v3, 0x18d3019, v0
	s_wait_alu 0xfffe
	s_add_nc_u64 s[2:3], s[12:13], s[2:3]
	s_load_b64 s[0:1], s[0:1], 0x20
	s_load_b64 s[2:3], s[2:3], 0x0
	s_delay_alu instid0(VALU_DEP_1) | instskip(NEXT) | instid1(VALU_DEP_1)
	v_mul_u32_u24_e32 v3, 0xa5, v3
	v_sub_nc_u32_e32 v60, v0, v3
	s_delay_alu instid0(VALU_DEP_1)
	v_add_nc_u32_e32 v62, 0xa5, v60
	v_add_nc_u32_e32 v61, 0x14a, v60
	;; [unrolled: 1-line block ×3, first 2 shown]
	s_wait_kmcnt 0x0
	v_cmp_gt_u64_e32 vcc_lo, s[0:1], v[7:8]
	v_mul_lo_u32 v3, s2, v8
	v_mul_lo_u32 v4, s3, v7
	v_mad_co_u64_u32 v[0:1], null, s2, v7, v[1:2]
	v_cmp_le_u64_e64 s0, s[0:1], v[7:8]
                                        ; implicit-def: $sgpr2
	s_delay_alu instid0(VALU_DEP_2) | instskip(NEXT) | instid1(VALU_DEP_2)
	v_add3_u32 v1, v4, v1, v3
	s_and_saveexec_b32 s1, s0
	s_wait_alu 0xfffe
	s_xor_b32 s0, exec_lo, s1
; %bb.10:
	v_add_nc_u32_e32 v62, 0xa5, v60
	v_add_nc_u32_e32 v61, 0x14a, v60
	;; [unrolled: 1-line block ×3, first 2 shown]
	s_mov_b32 s2, 0
; %bb.11:
	s_wait_alu 0xfffe
	s_or_saveexec_b32 s1, s0
	v_lshlrev_b64_e32 v[72:73], 4, v[0:1]
	v_mov_b32_e32 v74, s2
                                        ; implicit-def: $vgpr6_vgpr7
                                        ; implicit-def: $vgpr10_vgpr11
                                        ; implicit-def: $vgpr14_vgpr15
                                        ; implicit-def: $vgpr18_vgpr19
                                        ; implicit-def: $vgpr22_vgpr23
                                        ; implicit-def: $vgpr26_vgpr27
                                        ; implicit-def: $vgpr30_vgpr31
                                        ; implicit-def: $vgpr34_vgpr35
                                        ; implicit-def: $vgpr38_vgpr39
                                        ; implicit-def: $vgpr42_vgpr43
                                        ; implicit-def: $vgpr2_vgpr3
	s_wait_alu 0xfffe
	s_xor_b32 exec_lo, exec_lo, s1
	s_cbranch_execz .LBB0_13
; %bb.12:
	v_mad_co_u64_u32 v[0:1], null, s8, v60, 0
	v_mad_co_u64_u32 v[2:3], null, s8, v62, 0
	;; [unrolled: 1-line block ×4, first 2 shown]
	v_add_co_u32 v21, s0, s10, v72
	s_delay_alu instid0(VALU_DEP_4) | instskip(NEXT) | instid1(VALU_DEP_4)
	v_mad_co_u64_u32 v[8:9], null, s9, v60, v[1:2]
	v_mad_co_u64_u32 v[9:10], null, s9, v62, v[3:4]
	v_add_nc_u32_e32 v14, 0x294, v60
	s_wait_alu 0xf1ff
	v_add_co_ci_u32_e64 v22, s0, s11, v73, s0
	v_add_nc_u32_e32 v15, 0x339, v60
	v_mov_b32_e32 v1, v8
	v_mad_co_u64_u32 v[10:11], null, s8, v14, 0
	v_mov_b32_e32 v3, v9
	v_mad_co_u64_u32 v[8:9], null, s9, v61, v[5:6]
	s_delay_alu instid0(VALU_DEP_4) | instskip(SKIP_1) | instid1(VALU_DEP_4)
	v_lshlrev_b64_e32 v[0:1], 4, v[0:1]
	v_add_nc_u32_e32 v23, 0x5cd, v60
	v_lshlrev_b64_e32 v[2:3], 4, v[2:3]
	v_mov_b32_e32 v74, v60
	v_add_nc_u32_e32 v44, 0x672, v60
	v_add_co_u32 v0, s0, v21, v0
	v_mov_b32_e32 v5, v8
	v_mad_co_u64_u32 v[7:8], null, s9, v48, v[7:8]
	s_wait_alu 0xf1ff
	v_add_co_ci_u32_e64 v1, s0, v22, v1, s0
	v_mad_co_u64_u32 v[8:9], null, s8, v15, 0
	v_add_co_u32 v12, s0, v21, v2
	s_wait_alu 0xf1ff
	v_add_co_ci_u32_e64 v13, s0, v22, v3, s0
	s_clause 0x1
	global_load_b128 v[0:3], v[0:1], off
	global_load_b128 v[40:43], v[12:13], off
	v_mad_co_u64_u32 v[11:12], null, s9, v14, v[11:12]
	v_mad_co_u64_u32 v[12:13], null, s9, v15, v[9:10]
	v_lshlrev_b64_e32 v[6:7], 4, v[6:7]
	v_add_nc_u32_e32 v15, 0x3de, v60
	v_mad_co_u64_u32 v[17:18], null, s8, v23, 0
	v_lshlrev_b64_e32 v[10:11], 4, v[10:11]
	v_add_nc_u32_e32 v19, 0x528, v60
	v_dual_mov_b32 v9, v12 :: v_dual_add_nc_u32 v12, 0x483, v60
	v_lshlrev_b64_e32 v[4:5], 4, v[4:5]
	v_mad_co_u64_u32 v[13:14], null, s8, v15, 0
	s_delay_alu instid0(VALU_DEP_2) | instskip(SKIP_1) | instid1(VALU_DEP_3)
	v_add_co_u32 v4, s0, v21, v4
	s_wait_alu 0xf1ff
	v_add_co_ci_u32_e64 v5, s0, v22, v5, s0
	v_add_co_u32 v6, s0, v21, v6
	s_wait_alu 0xf1ff
	v_add_co_ci_u32_e64 v7, s0, v22, v7, s0
	s_clause 0x1
	global_load_b128 v[36:39], v[4:5], off
	global_load_b128 v[32:35], v[6:7], off
	v_lshlrev_b64_e32 v[7:8], 4, v[8:9]
	v_mov_b32_e32 v6, v14
	v_add_co_u32 v4, s0, v21, v10
	s_wait_alu 0xf1ff
	v_add_co_ci_u32_e64 v5, s0, v22, v11, s0
	s_delay_alu instid0(VALU_DEP_3)
	v_mad_co_u64_u32 v[9:10], null, s9, v15, v[6:7]
	v_add_co_u32 v6, s0, v21, v7
	s_wait_alu 0xf1ff
	v_add_co_ci_u32_e64 v7, s0, v22, v8, s0
	v_mad_co_u64_u32 v[10:11], null, s8, v12, 0
	s_clause 0x1
	global_load_b128 v[28:31], v[4:5], off
	global_load_b128 v[24:27], v[6:7], off
	v_mov_b32_e32 v4, v18
	v_mad_co_u64_u32 v[15:16], null, s8, v19, 0
	v_mov_b32_e32 v14, v9
	v_mov_b32_e32 v8, v11
	s_delay_alu instid0(VALU_DEP_2) | instskip(NEXT) | instid1(VALU_DEP_4)
	v_lshlrev_b64_e32 v[5:6], 4, v[13:14]
	v_mov_b32_e32 v9, v16
	s_delay_alu instid0(VALU_DEP_1) | instskip(SKIP_2) | instid1(VALU_DEP_2)
	v_mad_co_u64_u32 v[11:12], null, s9, v12, v[8:9]
	v_mad_co_u64_u32 v[8:9], null, s9, v19, v[9:10]
	;; [unrolled: 1-line block ×3, first 2 shown]
	v_mov_b32_e32 v16, v8
	v_mad_co_u64_u32 v[7:8], null, s9, v23, v[4:5]
	s_delay_alu instid0(VALU_DEP_3) | instskip(SKIP_4) | instid1(VALU_DEP_3)
	v_mov_b32_e32 v4, v20
	v_add_co_u32 v5, s0, v21, v5
	v_lshlrev_b64_e32 v[8:9], 4, v[10:11]
	s_wait_alu 0xf1ff
	v_add_co_ci_u32_e64 v6, s0, v22, v6, s0
	v_mad_co_u64_u32 v[10:11], null, s9, v44, v[4:5]
	v_lshlrev_b64_e32 v[11:12], 4, v[15:16]
	v_mov_b32_e32 v18, v7
	v_add_co_u32 v7, s0, v21, v8
	s_wait_alu 0xf1ff
	v_add_co_ci_u32_e64 v8, s0, v22, v9, s0
	v_mov_b32_e32 v20, v10
	v_lshlrev_b64_e32 v[13:14], 4, v[17:18]
	v_add_co_u32 v9, s0, v21, v11
	s_wait_alu 0xf1ff
	v_add_co_ci_u32_e64 v10, s0, v22, v12, s0
	v_lshlrev_b64_e32 v[11:12], 4, v[19:20]
	s_delay_alu instid0(VALU_DEP_4) | instskip(SKIP_2) | instid1(VALU_DEP_3)
	v_add_co_u32 v44, s0, v21, v13
	s_wait_alu 0xf1ff
	v_add_co_ci_u32_e64 v45, s0, v22, v14, s0
	v_add_co_u32 v46, s0, v21, v11
	s_wait_alu 0xf1ff
	v_add_co_ci_u32_e64 v47, s0, v22, v12, s0
	s_clause 0x4
	global_load_b128 v[20:23], v[5:6], off
	global_load_b128 v[16:19], v[7:8], off
	;; [unrolled: 1-line block ×5, first 2 shown]
.LBB0_13:
	s_or_b32 exec_lo, exec_lo, s1
	s_wait_loadcnt 0x9
	v_add_f64_e32 v[46:47], v[40:41], v[0:1]
	v_add_f64_e32 v[49:50], v[42:43], v[2:3]
	s_wait_loadcnt 0x0
	v_add_f64_e64 v[51:52], v[42:43], -v[6:7]
	v_add_f64_e64 v[53:54], v[40:41], -v[4:5]
	v_add_f64_e32 v[57:58], v[12:13], v[32:33]
	v_add_f64_e32 v[63:64], v[14:15], v[34:35]
	v_add_f64_e64 v[65:66], v[32:33], -v[12:13]
	v_add_f64_e64 v[67:68], v[34:35], -v[14:15]
	s_mov_b32 s24, 0xf8bb580b
	s_mov_b32 s25, 0xbfe14ced
	;; [unrolled: 1-line block ×5, first 2 shown]
	v_add_f64_e32 v[44:45], v[4:5], v[40:41]
	v_add_f64_e32 v[40:41], v[6:7], v[42:43]
	s_mov_b32 s15, 0xbfefac9e
	s_mov_b32 s16, 0xbb3a28a1
	;; [unrolled: 1-line block ×3, first 2 shown]
	v_add_f64_e64 v[42:43], v[38:39], -v[10:11]
	v_add_f64_e64 v[55:56], v[36:37], -v[8:9]
	s_mov_b32 s17, 0xbfe82f19
	s_mov_b32 s19, 0xbfd207e7
	v_add_f64_e64 v[85:86], v[24:25], -v[20:21]
	v_add_f64_e32 v[69:70], v[16:17], v[28:29]
	v_add_f64_e32 v[75:76], v[18:19], v[30:31]
	v_add_f64_e64 v[77:78], v[28:29], -v[16:17]
	v_add_f64_e64 v[79:80], v[30:31], -v[18:19]
	s_mov_b32 s0, 0x8764f0ba
	s_mov_b32 s2, 0xd9c712b6
	;; [unrolled: 1-line block ×11, first 2 shown]
	v_add_f64_e32 v[46:47], v[36:37], v[46:47]
	v_add_f64_e32 v[49:50], v[38:39], v[49:50]
	s_wait_alu 0xfffe
	v_mul_f64_e32 v[89:90], s[24:25], v[51:52]
	v_mul_f64_e32 v[93:94], s[12:13], v[51:52]
	;; [unrolled: 1-line block ×10, first 2 shown]
	s_mov_b32 s30, s18
	s_mov_b32 s28, s14
	;; [unrolled: 1-line block ×5, first 2 shown]
	v_add_f64_e32 v[36:37], v[8:9], v[36:37]
	v_mul_f64_e32 v[105:106], s[12:13], v[42:43]
	v_add_f64_e32 v[38:39], v[10:11], v[38:39]
	v_mul_f64_e32 v[107:108], s[16:17], v[42:43]
	v_mul_f64_e32 v[109:110], s[30:31], v[42:43]
	s_wait_alu 0xfffe
	v_mul_f64_e32 v[111:112], s[28:29], v[42:43]
	v_mul_f64_e32 v[42:43], s[26:27], v[42:43]
	;; [unrolled: 1-line block ×8, first 2 shown]
	v_add_f64_e32 v[81:82], v[20:21], v[24:25]
	v_add_f64_e32 v[83:84], v[22:23], v[26:27]
	v_add_f64_e64 v[87:88], v[26:27], -v[22:23]
	v_mul_f64_e32 v[117:118], s[14:15], v[67:68]
	v_mul_f64_e32 v[119:120], s[30:31], v[67:68]
	;; [unrolled: 1-line block ×5, first 2 shown]
	v_add_f64_e32 v[32:33], v[32:33], v[46:47]
	v_add_f64_e32 v[34:35], v[34:35], v[49:50]
	v_mul_f64_e32 v[46:47], s[12:13], v[55:56]
	s_mov_b32 s13, 0x3fed1bb4
	v_mul_f64_e32 v[49:50], s[16:17], v[55:56]
	v_fma_f64 v[165:166], v[44:45], s[2:3], v[93:94]
	v_fma_f64 v[167:168], v[40:41], s[2:3], -v[95:96]
	v_fma_f64 v[93:94], v[44:45], s[2:3], -v[93:94]
	v_fma_f64 v[169:170], v[44:45], s[6:7], v[97:98]
	v_fma_f64 v[171:172], v[40:41], s[6:7], -v[99:100]
	v_fma_f64 v[97:98], v[44:45], s[6:7], -v[97:98]
	v_fma_f64 v[173:174], v[44:45], s[22:23], v[101:102]
	v_fma_f64 v[101:102], v[44:45], s[22:23], -v[101:102]
	v_fma_f64 v[175:176], v[44:45], s[20:21], v[51:52]
	v_mul_f64_e32 v[55:56], s[26:27], v[55:56]
	v_fma_f64 v[177:178], v[40:41], s[20:21], -v[53:54]
	v_fma_f64 v[95:96], v[40:41], s[2:3], v[95:96]
	v_fma_f64 v[99:100], v[40:41], s[6:7], v[99:100]
	v_mul_f64_e32 v[127:128], s[30:31], v[65:66]
	v_mul_f64_e32 v[129:130], s[24:25], v[65:66]
	;; [unrolled: 1-line block ×3, first 2 shown]
	s_wait_alu 0xfffe
	v_mul_f64_e32 v[67:68], s[12:13], v[67:68]
	v_mul_f64_e32 v[65:66], s[12:13], v[65:66]
	v_fma_f64 v[179:180], v[36:37], s[22:23], v[107:108]
	v_fma_f64 v[107:108], v[36:37], s[22:23], -v[107:108]
	v_fma_f64 v[181:182], v[36:37], s[20:21], v[109:110]
	v_fma_f64 v[109:110], v[36:37], s[20:21], -v[109:110]
	;; [unrolled: 2-line block ×4, first 2 shown]
	v_mul_f64_e32 v[133:134], s[16:17], v[79:80]
	v_mul_f64_e32 v[135:136], s[28:29], v[79:80]
	;; [unrolled: 1-line block ×3, first 2 shown]
	v_fma_f64 v[191:192], v[57:58], s[20:21], v[119:120]
	v_fma_f64 v[119:120], v[57:58], s[20:21], -v[119:120]
	v_fma_f64 v[193:194], v[57:58], s[0:1], v[121:122]
	v_fma_f64 v[121:122], v[57:58], s[0:1], -v[121:122]
	v_add_f64_e32 v[28:29], v[28:29], v[32:33]
	v_add_f64_e32 v[30:31], v[30:31], v[34:35]
	v_fma_f64 v[34:35], v[44:45], s[0:1], v[89:90]
	v_fma_f64 v[89:90], v[44:45], s[0:1], -v[89:90]
	v_mul_f64_e32 v[32:33], s[12:13], v[85:86]
	v_fma_f64 v[85:86], v[40:41], s[0:1], -v[91:92]
	v_fma_f64 v[91:92], v[40:41], s[0:1], v[91:92]
	v_fma_f64 v[44:45], v[44:45], s[20:21], -v[51:52]
	v_fma_f64 v[51:52], v[40:41], s[22:23], -v[103:104]
	v_fma_f64 v[103:104], v[40:41], s[22:23], v[103:104]
	v_fma_f64 v[40:41], v[40:41], s[20:21], v[53:54]
	;; [unrolled: 1-line block ×3, first 2 shown]
	v_fma_f64 v[105:106], v[36:37], s[2:3], -v[105:106]
	v_fma_f64 v[187:188], v[38:39], s[22:23], -v[49:50]
	v_add_f64_e32 v[165:166], v[0:1], v[165:166]
	v_add_f64_e32 v[167:168], v[2:3], v[167:168]
	v_fma_f64 v[36:37], v[36:37], s[0:1], -v[42:43]
	v_fma_f64 v[42:43], v[38:39], s[2:3], -v[46:47]
	v_fma_f64 v[46:47], v[38:39], s[2:3], v[46:47]
	v_add_f64_e32 v[93:94], v[0:1], v[93:94]
	v_add_f64_e32 v[169:170], v[0:1], v[169:170]
	;; [unrolled: 1-line block ×8, first 2 shown]
	v_fma_f64 v[49:50], v[38:39], s[22:23], v[49:50]
	v_add_f64_e32 v[99:100], v[2:3], v[99:100]
	v_add_f64_e32 v[95:96], v[2:3], v[95:96]
	v_fma_f64 v[195:196], v[57:58], s[22:23], v[123:124]
	v_fma_f64 v[123:124], v[57:58], s[22:23], -v[123:124]
	v_fma_f64 v[197:198], v[63:64], s[6:7], -v[125:126]
	v_fma_f64 v[125:126], v[63:64], s[6:7], v[125:126]
	v_fma_f64 v[199:200], v[63:64], s[20:21], -v[127:128]
	v_fma_f64 v[127:128], v[63:64], s[20:21], v[127:128]
	v_fma_f64 v[205:206], v[57:58], s[2:3], v[67:68]
	v_mul_f64_e32 v[137:138], s[24:25], v[79:80]
	v_add_f64_e32 v[24:25], v[24:25], v[28:29]
	v_add_f64_e32 v[26:27], v[26:27], v[30:31]
	;; [unrolled: 1-line block ×4, first 2 shown]
	v_fma_f64 v[30:31], v[38:39], s[6:7], -v[115:116]
	v_fma_f64 v[28:29], v[38:39], s[20:21], v[113:114]
	v_add_f64_e32 v[91:92], v[2:3], v[91:92]
	v_fma_f64 v[113:114], v[38:39], s[6:7], v[115:116]
	v_add_f64_e32 v[51:52], v[2:3], v[51:52]
	v_fma_f64 v[115:116], v[38:39], s[0:1], -v[55:56]
	v_fma_f64 v[38:39], v[38:39], s[0:1], v[55:56]
	v_add_f64_e32 v[0:1], v[0:1], v[44:45]
	v_add_f64_e32 v[40:41], v[2:3], v[40:41]
	;; [unrolled: 1-line block ×4, first 2 shown]
	v_fma_f64 v[55:56], v[57:58], s[6:7], v[117:118]
	v_fma_f64 v[117:118], v[57:58], s[6:7], -v[117:118]
	v_fma_f64 v[85:86], v[63:64], s[22:23], -v[131:132]
	v_fma_f64 v[103:104], v[63:64], s[22:23], v[131:132]
	v_fma_f64 v[57:58], v[57:58], s[2:3], -v[67:68]
	v_fma_f64 v[67:68], v[63:64], s[2:3], -v[65:66]
	v_mul_f64_e32 v[141:142], s[16:17], v[77:78]
	v_mul_f64_e32 v[145:146], s[24:25], v[77:78]
	;; [unrolled: 1-line block ×6, first 2 shown]
	v_add_f64_e32 v[97:98], v[109:110], v[97:98]
	v_mul_f64_e32 v[151:152], s[26:27], v[87:88]
	v_fma_f64 v[131:132], v[69:70], s[22:23], -v[133:134]
	v_mul_f64_e32 v[149:150], s[18:19], v[87:88]
	v_mul_f64_e32 v[153:154], s[16:17], v[87:88]
	;; [unrolled: 1-line block ×4, first 2 shown]
	v_fma_f64 v[201:202], v[69:70], s[0:1], v[137:138]
	v_add_f64_e32 v[20:21], v[20:21], v[24:25]
	v_add_f64_e32 v[22:23], v[22:23], v[26:27]
	v_fma_f64 v[24:25], v[63:64], s[0:1], -v[129:130]
	v_fma_f64 v[26:27], v[63:64], s[0:1], v[129:130]
	v_fma_f64 v[63:64], v[63:64], s[2:3], v[65:66]
	v_add_f64_e32 v[34:35], v[53:54], v[34:35]
	v_add_f64_e32 v[53:54], v[105:106], v[89:90]
	;; [unrolled: 1-line block ×19, first 2 shown]
	v_fma_f64 v[129:130], v[69:70], s[22:23], v[133:134]
	v_fma_f64 v[133:134], v[69:70], s[6:7], v[135:136]
	v_fma_f64 v[42:43], v[75:76], s[6:7], -v[143:144]
	v_fma_f64 v[49:50], v[75:76], s[0:1], -v[145:146]
	;; [unrolled: 1-line block ×4, first 2 shown]
	v_fma_f64 v[203:204], v[69:70], s[20:21], v[139:140]
	v_fma_f64 v[139:140], v[69:70], s[20:21], -v[139:140]
	v_fma_f64 v[44:45], v[75:76], s[6:7], v[143:144]
	v_fma_f64 v[95:96], v[75:76], s[0:1], v[145:146]
	v_fma_f64 v[99:100], v[75:76], s[20:21], -v[147:148]
	v_fma_f64 v[111:112], v[75:76], s[20:21], v[147:148]
	v_fma_f64 v[145:146], v[69:70], s[2:3], v[79:80]
	v_fma_f64 v[69:70], v[69:70], s[2:3], -v[79:80]
	v_add_f64_e32 v[16:17], v[16:17], v[20:21]
	v_add_f64_e32 v[18:19], v[18:19], v[22:23]
	v_fma_f64 v[22:23], v[75:76], s[22:23], v[141:142]
	v_fma_f64 v[20:21], v[75:76], s[22:23], -v[141:142]
	v_fma_f64 v[79:80], v[75:76], s[2:3], -v[77:78]
	v_add_f64_e32 v[34:35], v[55:56], v[34:35]
	v_add_f64_e32 v[53:54], v[117:118], v[53:54]
	;; [unrolled: 1-line block ×5, first 2 shown]
	v_fma_f64 v[75:76], v[75:76], s[2:3], v[77:78]
	v_add_f64_e32 v[89:90], v[205:206], v[93:94]
	v_add_f64_e32 v[67:68], v[67:68], v[105:106]
	;; [unrolled: 1-line block ×15, first 2 shown]
	v_fma_f64 v[141:142], v[81:82], s[0:1], v[151:152]
	v_fma_f64 v[101:102], v[83:84], s[0:1], -v[157:158]
	v_fma_f64 v[113:114], v[81:82], s[20:21], v[149:150]
	v_fma_f64 v[115:116], v[81:82], s[20:21], -v[149:150]
	v_fma_f64 v[143:144], v[81:82], s[0:1], -v[151:152]
	v_fma_f64 v[40:41], v[81:82], s[22:23], v[153:154]
	v_fma_f64 v[63:64], v[81:82], s[22:23], -v[153:154]
	v_fma_f64 v[93:94], v[81:82], s[6:7], v[155:156]
	v_fma_f64 v[97:98], v[81:82], s[6:7], -v[155:156]
	v_fma_f64 v[103:104], v[83:84], s[0:1], v[157:158]
	v_fma_f64 v[105:106], v[83:84], s[22:23], -v[159:160]
	v_fma_f64 v[107:108], v[83:84], s[22:23], v[159:160]
	v_add_f64_e32 v[12:13], v[12:13], v[16:17]
	v_add_f64_e32 v[14:15], v[14:15], v[18:19]
	v_fma_f64 v[109:110], v[83:84], s[6:7], -v[161:162]
	v_fma_f64 v[117:118], v[83:84], s[6:7], v[161:162]
	v_fma_f64 v[18:19], v[83:84], s[20:21], v[163:164]
	v_add_f64_e32 v[16:17], v[129:130], v[34:35]
	v_fma_f64 v[119:120], v[83:84], s[20:21], -v[163:164]
	v_add_f64_e32 v[34:35], v[133:134], v[55:56]
	v_add_f64_e32 v[42:43], v[42:43], v[65:66]
	v_fma_f64 v[121:122], v[81:82], s[2:3], v[87:88]
	v_fma_f64 v[81:82], v[81:82], s[2:3], -v[87:88]
	v_fma_f64 v[87:88], v[83:84], s[2:3], -v[32:33]
	v_fma_f64 v[83:84], v[83:84], s[2:3], v[32:33]
	v_add_f64_e32 v[32:33], v[131:132], v[53:54]
	v_add_f64_e32 v[22:23], v[22:23], v[46:47]
	v_add_f64_e32 v[53:54], v[201:202], v[89:90]
	v_add_f64_e32 v[49:50], v[49:50], v[67:68]
	v_add_f64_e32 v[55:56], v[137:138], v[57:58]
	v_add_f64_e32 v[57:58], v[203:204], v[91:92]
	v_add_f64_e32 v[65:66], v[99:100], v[24:25]
	v_add_f64_e32 v[46:47], v[135:136], v[77:78]
	v_add_f64_e32 v[51:52], v[145:146], v[51:52]
	v_add_f64_e32 v[77:78], v[79:80], v[85:86]
	v_add_f64_e32 v[69:70], v[69:70], v[0:1]
	v_add_f64_e32 v[75:76], v[75:76], v[36:37]
	v_add_f64_e32 v[67:68], v[139:140], v[30:31]
	v_add_f64_e32 v[26:27], v[111:112], v[26:27]
	v_add_f64_e32 v[79:80], v[95:96], v[28:29]
	v_add_f64_e32 v[44:45], v[44:45], v[38:39]
	v_add_f64_e32 v[2:3], v[20:21], v[2:3]
	v_cmp_gt_u32_e64 s0, 0x6e, v60
	v_add_f64_e32 v[85:86], v[8:9], v[12:13]
	v_add_f64_e32 v[89:90], v[10:11], v[14:15]
	;; [unrolled: 1-line block ×22, first 2 shown]
	v_mad_u32_u24 v44, 0xb0, v60, 0
	v_lshl_add_u32 v64, v61, 4, 0
	v_lshl_add_u32 v63, v62, 4, 0
	;; [unrolled: 1-line block ×3, first 2 shown]
                                        ; implicit-def: $vgpr46_vgpr47
	s_delay_alu instid0(VALU_DEP_4)
	v_mad_i32_i24 v75, 0xffffff60, v60, v44
	v_add_f64_e32 v[4:5], v[4:5], v[85:86]
	v_add_f64_e32 v[6:7], v[6:7], v[89:90]
	ds_store_b128 v44, v[12:15] offset:32
	ds_store_b128 v44, v[20:23] offset:48
	;; [unrolled: 1-line block ×9, first 2 shown]
	ds_store_b128 v44, v[4:7]
	ds_store_b128 v44, v[0:3] offset:16
	global_wb scope:SCOPE_SE
	s_wait_dscnt 0x0
	s_barrier_signal -1
	s_barrier_wait -1
	global_inv scope:SCOPE_SE
	ds_load_b128 v[0:3], v75
	ds_load_b128 v[20:23], v75 offset:9680
	ds_load_b128 v[24:27], v75 offset:19360
	;; [unrolled: 1-line block ×3, first 2 shown]
	ds_load_b128 v[4:7], v64
	ds_load_b128 v[40:43], v75 offset:12320
	ds_load_b128 v[28:31], v75 offset:14960
	ds_load_b128 v[12:15], v63
	ds_load_b128 v[32:35], v75 offset:24640
	s_and_saveexec_b32 s1, s0
	s_cbranch_execz .LBB0_15
; %bb.14:
	ds_load_b128 v[8:11], v68
	ds_load_b128 v[16:19], v75 offset:17600
	ds_load_b128 v[44:47], v75 offset:27280
.LBB0_15:
	s_wait_alu 0xfffe
	s_or_b32 exec_lo, exec_lo, s1
	v_and_b32_e32 v67, 0xff, v60
	v_and_b32_e32 v66, 0xffff, v62
	;; [unrolled: 1-line block ×3, first 2 shown]
	s_mov_b32 s2, 0xe8584caa
	s_mov_b32 s3, 0xbfebb67a
	v_mul_lo_u16 v49, 0x75, v67
	v_mul_u32_u24_e32 v51, 0xba2f, v66
	v_mul_u32_u24_e32 v52, 0xba2f, v65
	s_mov_b32 s7, 0x3febb67a
	s_wait_alu 0xfffe
	s_mov_b32 s6, s2
	v_lshrrev_b16 v49, 8, v49
	v_lshrrev_b32_e32 v71, 19, v51
	v_lshrrev_b32_e32 v112, 19, v52
	s_delay_alu instid0(VALU_DEP_3) | instskip(NEXT) | instid1(VALU_DEP_3)
	v_sub_nc_u16 v50, v60, v49
	v_mul_lo_u16 v51, v71, 11
	s_delay_alu instid0(VALU_DEP_2) | instskip(NEXT) | instid1(VALU_DEP_2)
	v_lshrrev_b16 v50, 1, v50
	v_sub_nc_u16 v51, v62, v51
	s_delay_alu instid0(VALU_DEP_2) | instskip(NEXT) | instid1(VALU_DEP_2)
	v_and_b32_e32 v50, 0x7f, v50
	v_and_b32_e32 v114, 0xffff, v51
	s_delay_alu instid0(VALU_DEP_2) | instskip(SKIP_1) | instid1(VALU_DEP_3)
	v_add_nc_u16 v49, v50, v49
	v_and_b32_e32 v50, 0xffff, v48
	v_lshlrev_b32_e32 v54, 5, v114
	s_delay_alu instid0(VALU_DEP_3) | instskip(NEXT) | instid1(VALU_DEP_3)
	v_lshrrev_b16 v113, 3, v49
	v_mul_u32_u24_e32 v49, 0xba2f, v50
	v_mul_lo_u16 v50, v112, 11
	s_delay_alu instid0(VALU_DEP_3) | instskip(NEXT) | instid1(VALU_DEP_3)
	v_mul_lo_u16 v52, v113, 11
	v_lshrrev_b32_e32 v49, 19, v49
	s_delay_alu instid0(VALU_DEP_3) | instskip(NEXT) | instid1(VALU_DEP_3)
	v_sub_nc_u16 v50, v61, v50
	v_sub_nc_u16 v51, v60, v52
	s_delay_alu instid0(VALU_DEP_3) | instskip(NEXT) | instid1(VALU_DEP_3)
	v_mul_lo_u16 v52, v49, 11
	v_and_b32_e32 v115, 0xffff, v50
	s_delay_alu instid0(VALU_DEP_3) | instskip(NEXT) | instid1(VALU_DEP_3)
	v_and_b32_e32 v116, 0xff, v51
	v_sub_nc_u16 v48, v48, v52
	s_delay_alu instid0(VALU_DEP_3)
	v_lshlrev_b32_e32 v58, 5, v115
	s_clause 0x1
	global_load_b128 v[50:53], v54, s[4:5]
	global_load_b128 v[54:57], v54, s[4:5] offset:16
	v_lshlrev_b32_e32 v59, 5, v116
	v_and_b32_e32 v48, 0xffff, v48
	s_clause 0x3
	global_load_b128 v[76:79], v58, s[4:5]
	global_load_b128 v[80:83], v58, s[4:5] offset:16
	global_load_b128 v[84:87], v59, s[4:5]
	global_load_b128 v[88:91], v59, s[4:5] offset:16
	v_lshlrev_b32_e32 v58, 5, v48
	s_clause 0x1
	global_load_b128 v[92:95], v58, s[4:5]
	global_load_b128 v[96:99], v58, s[4:5] offset:16
	global_wb scope:SCOPE_SE
	s_wait_loadcnt_dscnt 0x0
	s_barrier_signal -1
	s_barrier_wait -1
	global_inv scope:SCOPE_SE
	v_mul_f64_e32 v[58:59], v[42:43], v[52:53]
	v_mul_f64_e32 v[52:53], v[40:41], v[52:53]
	;; [unrolled: 1-line block ×16, first 2 shown]
	v_fma_f64 v[40:41], v[40:41], v[50:51], v[58:59]
	v_fma_f64 v[42:43], v[42:43], v[50:51], -v[52:53]
	v_fma_f64 v[36:37], v[36:37], v[54:55], v[69:70]
	v_fma_f64 v[38:39], v[38:39], v[54:55], -v[56:57]
	v_fma_f64 v[28:29], v[28:29], v[76:77], v[100:101]
	v_fma_f64 v[32:33], v[32:33], v[80:81], v[102:103]
	;; [unrolled: 1-line block ×4, first 2 shown]
	v_fma_f64 v[24:25], v[22:23], v[84:85], -v[86:87]
	v_fma_f64 v[54:55], v[26:27], v[88:89], -v[90:91]
	;; [unrolled: 1-line block ×4, first 2 shown]
	v_fma_f64 v[20:21], v[16:17], v[92:93], v[108:109]
	v_fma_f64 v[16:17], v[44:45], v[96:97], v[110:111]
	v_fma_f64 v[22:23], v[18:19], v[92:93], -v[94:95]
	v_fma_f64 v[18:19], v[46:47], v[96:97], -v[98:99]
	v_add_f64_e32 v[80:81], v[12:13], v[40:41]
	v_add_f64_e32 v[34:35], v[40:41], v[36:37]
	;; [unrolled: 1-line block ×3, first 2 shown]
	v_add_f64_e64 v[82:83], v[42:43], -v[38:39]
	v_add_f64_e32 v[46:47], v[28:29], v[32:33]
	v_add_f64_e32 v[42:43], v[14:15], v[42:43]
	;; [unrolled: 1-line block ×3, first 2 shown]
	v_add_f64_e64 v[40:41], v[40:41], -v[36:37]
	v_add_f64_e32 v[58:59], v[24:25], v[54:55]
	v_add_f64_e32 v[84:85], v[4:5], v[28:29]
	;; [unrolled: 1-line block ×8, first 2 shown]
	v_add_f64_e64 v[92:93], v[26:27], -v[30:31]
	v_add_f64_e64 v[94:95], v[24:25], -v[54:55]
	;; [unrolled: 1-line block ×3, first 2 shown]
	v_fma_f64 v[34:35], v[34:35], -0.5, v[12:13]
	v_fma_f64 v[44:45], v[44:45], -0.5, v[14:15]
	v_add_f64_e32 v[12:13], v[80:81], v[36:37]
	v_fma_f64 v[4:5], v[46:47], -0.5, v[4:5]
	v_add_f64_e32 v[14:15], v[42:43], v[38:39]
	v_fma_f64 v[0:1], v[56:57], -0.5, v[0:1]
	v_add_f64_e64 v[56:57], v[50:51], -v[52:53]
	v_fma_f64 v[2:3], v[58:59], -0.5, v[2:3]
	v_add_f64_e64 v[58:59], v[28:29], -v[32:33]
	;; [unrolled: 2-line block ×3, first 2 shown]
	v_fma_f64 v[76:77], v[76:77], -0.5, v[8:9]
	v_add_f64_e32 v[24:25], v[84:85], v[32:33]
	v_fma_f64 v[78:79], v[78:79], -0.5, v[10:11]
	v_add_f64_e32 v[26:27], v[86:87], v[30:31]
	v_add_f64_e32 v[28:29], v[88:89], v[52:53]
	;; [unrolled: 1-line block ×3, first 2 shown]
	v_fma_f64 v[32:33], v[82:83], s[2:3], v[34:35]
	s_wait_alu 0xfffe
	v_fma_f64 v[36:37], v[82:83], s[6:7], v[34:35]
	v_fma_f64 v[34:35], v[40:41], s[6:7], v[44:45]
	;; [unrolled: 1-line block ×15, first 2 shown]
	v_and_b32_e32 v58, 0xffff, v113
	v_lshlrev_b32_e32 v76, 4, v116
	v_mul_u32_u24_e32 v59, 0x210, v71
	v_lshlrev_b32_e32 v70, 4, v114
	v_mul_u32_u24_e32 v69, 0x210, v112
	v_mul_u32_u24_e32 v58, 0x210, v58
	v_lshlrev_b32_e32 v71, 4, v115
	s_delay_alu instid0(VALU_DEP_4) | instskip(NEXT) | instid1(VALU_DEP_3)
	v_add3_u32 v59, 0, v59, v70
	v_add3_u32 v58, 0, v58, v76
	s_delay_alu instid0(VALU_DEP_3)
	v_add3_u32 v69, 0, v69, v71
	ds_store_b128 v58, v[28:31]
	ds_store_b128 v58, v[44:47] offset:176
	ds_store_b128 v58, v[50:53] offset:352
	ds_store_b128 v59, v[12:15]
	ds_store_b128 v59, v[32:35] offset:176
	ds_store_b128 v59, v[36:39] offset:352
	;; [unrolled: 3-line block ×3, first 2 shown]
	s_and_saveexec_b32 s1, s0
	s_cbranch_execz .LBB0_17
; %bb.16:
	v_add_f64_e32 v[10:11], v[10:11], v[22:23]
	v_add_f64_e32 v[8:9], v[8:9], v[20:21]
	v_mul_lo_u16 v12, v49, 33
	v_lshlrev_b32_e32 v13, 4, v48
	s_delay_alu instid0(VALU_DEP_2) | instskip(NEXT) | instid1(VALU_DEP_1)
	v_and_b32_e32 v12, 0xffff, v12
	v_lshlrev_b32_e32 v12, 4, v12
	s_delay_alu instid0(VALU_DEP_1)
	v_add3_u32 v12, 0, v13, v12
	v_add_f64_e32 v[10:11], v[10:11], v[18:19]
	v_add_f64_e32 v[8:9], v[8:9], v[16:17]
	ds_store_b128 v12, v[8:11]
	ds_store_b128 v12, v[0:3] offset:176
	ds_store_b128 v12, v[4:7] offset:352
.LBB0_17:
	s_wait_alu 0xfffe
	s_or_b32 exec_lo, exec_lo, s1
	global_wb scope:SCOPE_SE
	s_wait_dscnt 0x0
	s_barrier_signal -1
	s_barrier_wait -1
	global_inv scope:SCOPE_SE
	ds_load_b128 v[20:23], v75
	ds_load_b128 v[48:51], v75 offset:5808
	ds_load_b128 v[40:43], v75 offset:11616
	;; [unrolled: 1-line block ×7, first 2 shown]
	ds_load_b128 v[24:27], v63
	ds_load_b128 v[44:47], v75 offset:25872
	v_cmp_gt_u32_e64 s0, 33, v60
                                        ; implicit-def: $vgpr18_vgpr19
                                        ; implicit-def: $vgpr14_vgpr15
                                        ; implicit-def: $vgpr10_vgpr11
	s_delay_alu instid0(VALU_DEP_1)
	s_and_saveexec_b32 s1, s0
	s_cbranch_execz .LBB0_19
; %bb.18:
	ds_load_b128 v[0:3], v64
	ds_load_b128 v[4:7], v75 offset:11088
	ds_load_b128 v[8:11], v75 offset:16896
	;; [unrolled: 1-line block ×4, first 2 shown]
.LBB0_19:
	s_wait_alu 0xfffe
	s_or_b32 exec_lo, exec_lo, s1
	v_mul_lo_u16 v67, 0xf9, v67
	v_mul_u32_u24_e32 v66, 0xf83f, v66
	s_mov_b32 s2, 0x134454ff
	s_mov_b32 s3, 0xbfee6f0e
	;; [unrolled: 1-line block ×3, first 2 shown]
	v_lshrrev_b16 v71, 13, v67
	v_lshrrev_b32_e32 v136, 21, v66
	s_wait_alu 0xfffe
	s_mov_b32 s6, s2
	s_mov_b32 s14, 0x4755a5e
	s_mov_b32 s15, 0xbfe2cf23
	v_mul_lo_u16 v67, v71, 33
	s_mov_b32 s13, 0x3fe2cf23
	s_wait_alu 0xfffe
	s_mov_b32 s12, s14
	s_mov_b32 s16, 0x372fe950
	;; [unrolled: 1-line block ×3, first 2 shown]
	v_sub_nc_u16 v66, v60, v67
	v_mul_lo_u16 v67, v136, 33
	s_delay_alu instid0(VALU_DEP_2) | instskip(NEXT) | instid1(VALU_DEP_2)
	v_and_b32_e32 v137, 0xff, v66
	v_sub_nc_u16 v62, v62, v67
	s_delay_alu instid0(VALU_DEP_2) | instskip(NEXT) | instid1(VALU_DEP_2)
	v_lshlrev_b32_e32 v66, 6, v137
	v_and_b32_e32 v62, 0xffff, v62
	s_clause 0x2
	global_load_b128 v[76:79], v66, s[4:5] offset:352
	global_load_b128 v[80:83], v66, s[4:5] offset:368
	;; [unrolled: 1-line block ×3, first 2 shown]
	v_lshlrev_b32_e32 v67, 6, v62
	v_lshlrev_b32_e32 v62, 4, v62
	s_clause 0x4
	global_load_b128 v[88:91], v66, s[4:5] offset:400
	global_load_b128 v[92:95], v67, s[4:5] offset:352
	;; [unrolled: 1-line block ×5, first 2 shown]
	global_wb scope:SCOPE_SE
	s_wait_loadcnt_dscnt 0x0
	s_barrier_signal -1
	s_barrier_wait -1
	global_inv scope:SCOPE_SE
	v_mul_f64_e32 v[66:67], v[50:51], v[78:79]
	v_mul_f64_e32 v[69:70], v[42:43], v[82:83]
	;; [unrolled: 1-line block ×16, first 2 shown]
	v_fma_f64 v[48:49], v[48:49], v[76:77], v[66:67]
	v_fma_f64 v[40:41], v[40:41], v[80:81], v[69:70]
	;; [unrolled: 1-line block ×3, first 2 shown]
	v_fma_f64 v[42:43], v[42:43], v[80:81], -v[82:83]
	v_fma_f64 v[54:55], v[54:55], v[84:85], -v[86:87]
	;; [unrolled: 1-line block ×3, first 2 shown]
	v_fma_f64 v[56:57], v[56:57], v[88:89], v[110:111]
	v_fma_f64 v[58:59], v[58:59], v[88:89], -v[90:91]
	v_fma_f64 v[32:33], v[32:33], v[96:97], v[114:115]
	v_fma_f64 v[36:37], v[36:37], v[100:101], v[116:117]
	v_fma_f64 v[34:35], v[34:35], v[96:97], -v[98:99]
	v_fma_f64 v[38:39], v[38:39], v[100:101], -v[102:103]
	v_fma_f64 v[28:29], v[28:29], v[92:93], v[112:113]
	v_fma_f64 v[30:31], v[30:31], v[92:93], -v[94:95]
	v_fma_f64 v[44:45], v[44:45], v[104:105], v[118:119]
	v_fma_f64 v[46:47], v[46:47], v[104:105], -v[106:107]
	v_add_f64_e32 v[88:89], v[20:21], v[48:49]
	v_add_f64_e32 v[66:67], v[40:41], v[52:53]
	;; [unrolled: 1-line block ×6, first 2 shown]
	v_add_f64_e64 v[90:91], v[50:51], -v[58:59]
	v_add_f64_e32 v[80:81], v[32:33], v[36:37]
	v_add_f64_e64 v[100:101], v[48:49], -v[56:57]
	v_add_f64_e32 v[84:85], v[34:35], v[38:39]
	v_add_f64_e32 v[96:97], v[24:25], v[28:29]
	v_add_f64_e64 v[92:93], v[42:43], -v[54:55]
	v_add_f64_e32 v[82:83], v[28:29], v[44:45]
	v_add_f64_e32 v[86:87], v[30:31], v[46:47]
	v_add_f64_e32 v[98:99], v[26:27], v[30:31]
	v_add_f64_e64 v[102:103], v[30:31], -v[46:47]
	v_add_f64_e64 v[104:105], v[28:29], -v[44:45]
	;; [unrolled: 1-line block ×16, first 2 shown]
	v_fma_f64 v[66:67], v[66:67], -0.5, v[20:21]
	v_fma_f64 v[76:77], v[76:77], -0.5, v[22:23]
	v_add_f64_e32 v[42:43], v[94:95], v[42:43]
	v_fma_f64 v[20:21], v[69:70], -0.5, v[20:21]
	v_add_f64_e64 v[69:70], v[40:41], -v[52:53]
	v_fma_f64 v[22:23], v[78:79], -0.5, v[22:23]
	v_fma_f64 v[80:81], v[80:81], -0.5, v[24:25]
	v_add_f64_e64 v[78:79], v[34:35], -v[38:39]
	v_fma_f64 v[84:85], v[84:85], -0.5, v[26:27]
	;; [unrolled: 3-line block ×3, first 2 shown]
	v_add_f64_e64 v[86:87], v[48:49], -v[40:41]
	v_add_f64_e64 v[48:49], v[40:41], -v[48:49]
	v_add_f64_e32 v[40:41], v[88:89], v[40:41]
	v_add_f64_e32 v[32:33], v[96:97], v[32:33]
	;; [unrolled: 1-line block ×5, first 2 shown]
	v_fma_f64 v[88:89], v[90:91], s[2:3], v[66:67]
	v_fma_f64 v[66:67], v[90:91], s[6:7], v[66:67]
	v_fma_f64 v[96:97], v[100:101], s[6:7], v[76:77]
	v_fma_f64 v[76:77], v[100:101], s[2:3], v[76:77]
	v_fma_f64 v[94:95], v[92:93], s[6:7], v[20:21]
	v_fma_f64 v[20:21], v[92:93], s[2:3], v[20:21]
	v_fma_f64 v[98:99], v[69:70], s[2:3], v[22:23]
	v_fma_f64 v[22:23], v[69:70], s[6:7], v[22:23]
	v_fma_f64 v[128:129], v[102:103], s[2:3], v[80:81]
	v_fma_f64 v[132:133], v[104:105], s[6:7], v[84:85]
	v_fma_f64 v[80:81], v[102:103], s[6:7], v[80:81]
	v_fma_f64 v[84:85], v[104:105], s[2:3], v[84:85]
	v_fma_f64 v[130:131], v[78:79], s[6:7], v[24:25]
	v_fma_f64 v[24:25], v[78:79], s[2:3], v[24:25]
	v_fma_f64 v[134:135], v[82:83], s[2:3], v[26:27]
	v_fma_f64 v[26:27], v[82:83], s[6:7], v[26:27]
	v_add_f64_e32 v[86:87], v[86:87], v[106:107]
	v_add_f64_e32 v[106:107], v[110:111], v[112:113]
	;; [unrolled: 1-line block ×10, first 2 shown]
	v_fma_f64 v[36:37], v[92:93], s[14:15], v[88:89]
	s_wait_alu 0xfffe
	v_fma_f64 v[38:39], v[92:93], s[12:13], v[66:67]
	v_fma_f64 v[52:53], v[69:70], s[12:13], v[96:97]
	;; [unrolled: 1-line block ×15, first 2 shown]
	v_add_f64_e32 v[20:21], v[28:29], v[56:57]
	v_add_f64_e32 v[22:23], v[30:31], v[58:59]
	;; [unrolled: 1-line block ×4, first 2 shown]
	v_fma_f64 v[28:29], v[86:87], s[16:17], v[36:37]
	v_fma_f64 v[32:33], v[86:87], s[16:17], v[38:39]
	v_fma_f64 v[30:31], v[106:107], s[16:17], v[52:53]
	v_fma_f64 v[34:35], v[106:107], s[16:17], v[54:55]
	v_fma_f64 v[36:37], v[48:49], s[16:17], v[40:41]
	v_fma_f64 v[40:41], v[48:49], s[16:17], v[42:43]
	v_fma_f64 v[38:39], v[50:51], s[16:17], v[66:67]
	v_fma_f64 v[42:43], v[50:51], s[16:17], v[69:70]
	v_fma_f64 v[44:45], v[108:109], s[16:17], v[76:77]
	v_fma_f64 v[46:47], v[112:113], s[16:17], v[90:91]
	v_fma_f64 v[48:49], v[108:109], s[16:17], v[78:79]
	v_fma_f64 v[50:51], v[112:113], s[16:17], v[82:83]
	v_fma_f64 v[52:53], v[110:111], s[16:17], v[80:81]
	v_fma_f64 v[56:57], v[110:111], s[16:17], v[88:89]
	v_fma_f64 v[54:55], v[114:115], s[16:17], v[92:93]
	v_fma_f64 v[58:59], v[114:115], s[16:17], v[94:95]
	v_and_b32_e32 v66, 0xffff, v71
	v_lshlrev_b32_e32 v67, 4, v137
	v_mul_u32_u24_e32 v69, 0xa50, v136
	s_delay_alu instid0(VALU_DEP_3) | instskip(NEXT) | instid1(VALU_DEP_2)
	v_mul_u32_u24_e32 v66, 0xa50, v66
	v_add3_u32 v62, 0, v69, v62
	s_delay_alu instid0(VALU_DEP_2)
	v_add3_u32 v66, 0, v66, v67
	ds_store_b128 v66, v[20:23]
	ds_store_b128 v66, v[28:31] offset:528
	ds_store_b128 v66, v[36:39] offset:1056
	;; [unrolled: 1-line block ×4, first 2 shown]
	ds_store_b128 v62, v[24:27]
	ds_store_b128 v62, v[44:47] offset:528
	ds_store_b128 v62, v[52:55] offset:1056
	;; [unrolled: 1-line block ×4, first 2 shown]
	s_and_saveexec_b32 s1, s0
	s_cbranch_execz .LBB0_21
; %bb.20:
	v_mul_u32_u24_e32 v20, 0xf83f, v65
	s_delay_alu instid0(VALU_DEP_1) | instskip(NEXT) | instid1(VALU_DEP_1)
	v_lshrrev_b32_e32 v20, 21, v20
	v_mul_lo_u16 v20, v20, 33
	s_delay_alu instid0(VALU_DEP_1) | instskip(NEXT) | instid1(VALU_DEP_1)
	v_sub_nc_u16 v20, v61, v20
	v_and_b32_e32 v52, 0xffff, v20
	s_delay_alu instid0(VALU_DEP_1)
	v_lshlrev_b32_e32 v32, 6, v52
	s_clause 0x3
	global_load_b128 v[20:23], v32, s[4:5] offset:368
	global_load_b128 v[24:27], v32, s[4:5] offset:352
	;; [unrolled: 1-line block ×4, first 2 shown]
	s_wait_loadcnt 0x3
	v_mul_f64_e32 v[36:37], v[8:9], v[22:23]
	s_wait_loadcnt 0x2
	v_mul_f64_e32 v[38:39], v[4:5], v[26:27]
	s_wait_loadcnt 0x1
	v_mul_f64_e32 v[40:41], v[16:17], v[30:31]
	s_wait_loadcnt 0x0
	v_mul_f64_e32 v[42:43], v[12:13], v[34:35]
	v_mul_f64_e32 v[22:23], v[10:11], v[22:23]
	v_mul_f64_e32 v[34:35], v[14:15], v[34:35]
	;; [unrolled: 1-line block ×4, first 2 shown]
	v_fma_f64 v[10:11], v[10:11], v[20:21], -v[36:37]
	v_fma_f64 v[6:7], v[6:7], v[24:25], -v[38:39]
	v_fma_f64 v[18:19], v[18:19], v[28:29], -v[40:41]
	v_fma_f64 v[14:15], v[14:15], v[32:33], -v[42:43]
	v_fma_f64 v[8:9], v[8:9], v[20:21], v[22:23]
	v_fma_f64 v[12:13], v[12:13], v[32:33], v[34:35]
	;; [unrolled: 1-line block ×4, first 2 shown]
	v_add_f64_e32 v[32:33], v[2:3], v[6:7]
	v_add_f64_e32 v[20:21], v[6:7], v[18:19]
	;; [unrolled: 1-line block ×3, first 2 shown]
	v_add_f64_e64 v[36:37], v[6:7], -v[18:19]
	v_add_f64_e32 v[24:25], v[8:9], v[12:13]
	v_add_f64_e32 v[34:35], v[0:1], v[4:5]
	;; [unrolled: 1-line block ×3, first 2 shown]
	v_add_f64_e64 v[28:29], v[8:9], -v[12:13]
	v_add_f64_e64 v[30:31], v[4:5], -v[16:17]
	;; [unrolled: 1-line block ×8, first 2 shown]
	v_fma_f64 v[20:21], v[20:21], -0.5, v[2:3]
	v_fma_f64 v[2:3], v[22:23], -0.5, v[2:3]
	v_add_f64_e64 v[22:23], v[10:11], -v[14:15]
	v_fma_f64 v[24:25], v[24:25], -0.5, v[0:1]
	v_add_f64_e32 v[8:9], v[34:35], v[8:9]
	v_fma_f64 v[0:1], v[26:27], -0.5, v[0:1]
	v_add_f64_e64 v[26:27], v[10:11], -v[6:7]
	v_add_f64_e64 v[6:7], v[6:7], -v[10:11]
	v_add_f64_e32 v[10:11], v[32:33], v[10:11]
	v_fma_f64 v[32:33], v[28:29], s[6:7], v[20:21]
	v_fma_f64 v[20:21], v[28:29], s[2:3], v[20:21]
	;; [unrolled: 1-line block ×8, first 2 shown]
	v_add_f64_e32 v[26:27], v[26:27], v[38:39]
	v_add_f64_e32 v[38:39], v[6:7], v[40:41]
	;; [unrolled: 1-line block ×6, first 2 shown]
	v_fma_f64 v[8:9], v[30:31], s[14:15], v[32:33]
	v_fma_f64 v[10:11], v[30:31], s[12:13], v[20:21]
	;; [unrolled: 1-line block ×8, first 2 shown]
	v_add_f64_e32 v[2:3], v[4:5], v[18:19]
	v_add_f64_e32 v[0:1], v[6:7], v[16:17]
	v_fma_f64 v[6:7], v[26:27], s[16:17], v[8:9]
	v_fma_f64 v[10:11], v[26:27], s[16:17], v[10:11]
	v_fma_f64 v[14:15], v[38:39], s[16:17], v[12:13]
	v_fma_f64 v[18:19], v[38:39], s[16:17], v[20:21]
	v_fma_f64 v[16:17], v[42:43], s[16:17], v[28:29]
	v_fma_f64 v[8:9], v[40:41], s[16:17], v[30:31]
	v_fma_f64 v[4:5], v[40:41], s[16:17], v[32:33]
	v_fma_f64 v[12:13], v[42:43], s[16:17], v[22:23]
	v_lshl_add_u32 v20, v52, 4, 0
	ds_store_b128 v20, v[0:3] offset:26400
	ds_store_b128 v20, v[16:19] offset:26928
	;; [unrolled: 1-line block ×5, first 2 shown]
.LBB0_21:
	s_wait_alu 0xfffe
	s_or_b32 exec_lo, exec_lo, s1
	global_wb scope:SCOPE_SE
	s_wait_dscnt 0x0
	s_barrier_signal -1
	s_barrier_wait -1
	global_inv scope:SCOPE_SE
	s_and_saveexec_b32 s0, vcc_lo
	s_cbranch_execz .LBB0_23
; %bb.22:
	v_mul_u32_u24_e32 v0, 10, v60
	v_mad_co_u64_u32 v[92:93], null, s8, v74, 0
	v_add_nc_u32_e32 v129, 0x3de, v74
	v_add_nc_u32_e32 v130, 0x483, v74
	s_delay_alu instid0(VALU_DEP_4)
	v_lshlrev_b32_e32 v8, 4, v0
	v_add_nc_u32_e32 v127, 0x294, v74
	v_add_nc_u32_e32 v131, 0x528, v74
	;; [unrolled: 1-line block ×3, first 2 shown]
	v_mad_co_u64_u32 v[100:101], null, s8, v130, 0
	s_clause 0x9
	global_load_b128 v[44:47], v8, s[4:5] offset:2464
	global_load_b128 v[40:43], v8, s[4:5] offset:2480
	;; [unrolled: 1-line block ×10, first 2 shown]
	ds_load_b128 v[20:23], v75 offset:13200
	ds_load_b128 v[24:27], v75 offset:15840
	ds_load_b128 v[52:55], v64
	ds_load_b128 v[64:67], v63
	;; [unrolled: 1-line block ×3, first 2 shown]
	ds_load_b128 v[48:51], v75 offset:18480
	ds_load_b128 v[60:63], v75 offset:21120
	;; [unrolled: 1-line block ×3, first 2 shown]
	ds_load_b128 v[68:71], v75
	ds_load_b128 v[80:83], v75 offset:23760
	ds_load_b128 v[84:87], v75 offset:26400
	v_mov_b32_e32 v75, v93
	v_add_nc_u32_e32 v133, 0x672, v74
	v_mad_co_u64_u32 v[102:103], null, s8, v131, 0
	v_add_nc_u32_e32 v132, 0x5cd, v74
	v_mad_co_u64_u32 v[96:97], null, s8, v126, 0
	s_delay_alu instid0(VALU_DEP_4) | instskip(SKIP_4) | instid1(VALU_DEP_2)
	v_mad_co_u64_u32 v[122:123], null, s8, v133, 0
	s_mov_b32 s18, 0xbb3a28a1
	s_mov_b32 s22, 0xfd768dbf
	;; [unrolled: 1-line block ×4, first 2 shown]
	v_mov_b32_e32 v93, v97
	s_mov_b32 s19, 0xbfe82f19
	s_delay_alu instid0(VALU_DEP_2)
	v_mov_b32_e32 v97, v123
	s_mov_b32 s12, 0xf8bb580b
	s_mov_b32 s23, 0xbfd207e7
	s_mov_b32 s16, 0x43842ef
	s_mov_b32 s13, 0x3fe14ced
	s_mov_b32 s27, 0xbfe14ced
	s_wait_alu 0xfffe
	s_mov_b32 s26, s12
	s_mov_b32 s17, 0xbfefac9e
	;; [unrolled: 1-line block ×14, first 2 shown]
	s_wait_loadcnt_dscnt 0x907
	v_mul_f64_e32 v[88:89], v[64:65], v[46:47]
	v_mul_f64_e32 v[90:91], v[46:47], v[66:67]
	s_wait_loadcnt 0x8
	v_mul_f64_e32 v[98:99], v[52:53], v[42:43]
	v_mul_f64_e32 v[42:43], v[42:43], v[54:55]
	s_wait_loadcnt_dscnt 0x703
	v_mul_f64_e32 v[104:105], v[6:7], v[78:79]
	s_wait_loadcnt 0x6
	v_mul_f64_e32 v[106:107], v[38:39], v[58:59]
	v_mul_f64_e32 v[38:39], v[56:57], v[38:39]
	s_wait_loadcnt_dscnt 0x300
	v_mul_f64_e32 v[112:113], v[30:31], v[86:87]
	v_mul_f64_e32 v[30:31], v[84:85], v[30:31]
	s_wait_loadcnt 0x2
	v_mul_f64_e32 v[114:115], v[18:19], v[50:51]
	v_mul_f64_e32 v[6:7], v[76:77], v[6:7]
	;; [unrolled: 1-line block ×3, first 2 shown]
	s_wait_loadcnt 0x1
	v_mul_f64_e32 v[116:117], v[14:15], v[22:23]
	s_wait_loadcnt 0x0
	v_mul_f64_e32 v[118:119], v[10:11], v[26:27]
	v_mul_f64_e32 v[14:15], v[20:21], v[14:15]
	;; [unrolled: 1-line block ×7, first 2 shown]
	v_add_co_u32 v46, vcc_lo, s10, v72
	s_wait_alu 0xfffd
	v_add_co_ci_u32_e32 v47, vcc_lo, s11, v73, vcc_lo
	v_fma_f64 v[66:67], v[44:45], v[66:67], -v[88:89]
	v_fma_f64 v[44:45], v[44:45], v[64:65], v[90:91]
	v_fma_f64 v[54:55], v[40:41], v[54:55], -v[98:99]
	v_fma_f64 v[40:41], v[40:41], v[52:53], v[42:43]
	v_mad_co_u64_u32 v[90:91], null, s8, v129, 0
	v_add_nc_u32_e32 v128, 0x339, v74
	v_mad_co_u64_u32 v[88:89], null, s8, v127, 0
	v_fma_f64 v[56:57], v[36:37], v[56:57], v[106:107]
	v_fma_f64 v[36:37], v[36:37], v[58:59], -v[38:39]
	v_fma_f64 v[38:39], v[28:29], v[84:85], v[112:113]
	v_mov_b32_e32 v53, v91
	v_mad_co_u64_u32 v[64:65], null, s8, v128, 0
	v_add_nc_u32_e32 v125, 0x14a, v74
	v_fma_f64 v[28:29], v[28:29], v[86:87], -v[30:31]
	v_fma_f64 v[30:31], v[16:17], v[48:49], v[114:115]
	v_fma_f64 v[60:61], v[32:33], v[60:61], v[108:109]
	v_fma_f64 v[32:33], v[32:33], v[62:63], -v[34:35]
	v_dual_mov_b32 v91, v103 :: v_dual_mov_b32 v52, v65
	v_mov_b32_e32 v65, v101
	v_mad_co_u64_u32 v[94:95], null, s8, v125, 0
	v_add_nc_u32_e32 v124, 0xa5, v74
	v_mad_co_u64_u32 v[74:75], null, s9, v74, v[75:76]
	v_fma_f64 v[76:77], v[4:5], v[76:77], v[104:105]
	v_fma_f64 v[4:5], v[4:5], v[78:79], -v[6:7]
	v_fma_f64 v[6:7], v[16:17], v[50:51], -v[18:19]
	v_mov_b32_e32 v75, v95
	v_fma_f64 v[16:17], v[12:13], v[20:21], v[116:117]
	v_fma_f64 v[18:19], v[8:9], v[24:25], v[118:119]
	v_fma_f64 v[12:13], v[12:13], v[22:23], -v[14:15]
	v_mad_co_u64_u32 v[20:21], null, s9, v127, v[89:90]
	v_fma_f64 v[8:9], v[8:9], v[26:27], -v[10:11]
	v_add_f64_e32 v[98:99], v[70:71], v[66:67]
	v_add_f64_e32 v[42:43], v[44:45], v[68:69]
	v_mad_co_u64_u32 v[23:24], null, s9, v129, v[53:54]
	v_mad_co_u64_u32 v[24:25], null, s9, v130, v[65:66]
	;; [unrolled: 1-line block ×4, first 2 shown]
	v_fma_f64 v[34:35], v[0:1], v[80:81], v[110:111]
	v_mad_co_u64_u32 v[14:15], null, s9, v126, v[93:94]
	v_fma_f64 v[0:1], v[0:1], v[82:83], -v[2:3]
	v_mad_co_u64_u32 v[2:3], null, s9, v128, v[52:53]
	v_mov_b32_e32 v95, v121
	v_mad_co_u64_u32 v[123:124], null, s9, v124, v[73:74]
	v_mov_b32_e32 v93, v74
	v_mov_b32_e32 v89, v20
	s_delay_alu instid0(VALU_DEP_4)
	v_mad_co_u64_u32 v[48:49], null, s9, v132, v[95:96]
	v_mov_b32_e32 v65, v2
	v_add_f64_e64 v[2:3], v[56:57], -v[60:61]
	v_add_f64_e64 v[52:53], v[66:67], -v[28:29]
	v_mov_b32_e32 v101, v24
	v_mov_b32_e32 v73, v123
	v_mad_co_u64_u32 v[10:11], null, s9, v125, v[75:76]
	v_add_f64_e64 v[58:59], v[76:77], -v[30:31]
	v_add_f64_e64 v[62:63], v[4:5], -v[6:7]
	v_mov_b32_e32 v121, v48
	v_add_f64_e32 v[66:67], v[66:67], v[28:29]
	v_lshlrev_b64_e32 v[86:87], 4, v[100:101]
	v_add_f64_e32 v[100:101], v[16:17], v[18:19]
	v_mov_b32_e32 v95, v10
	v_add_f64_e64 v[74:75], v[12:13], -v[8:9]
	v_add_f64_e32 v[21:22], v[54:55], v[98:99]
	v_add_f64_e32 v[25:26], v[40:41], v[42:43]
	v_mad_co_u64_u32 v[49:50], null, s9, v133, v[97:98]
	v_mad_co_u64_u32 v[42:43], null, s9, v131, v[91:92]
	v_mov_b32_e32 v97, v14
	v_add_f64_e64 v[14:15], v[44:45], -v[38:39]
	v_add_f64_e64 v[50:51], v[36:37], -v[32:33]
	v_mov_b32_e32 v91, v23
	v_add_f64_e64 v[23:24], v[16:17], -v[18:19]
	v_mov_b32_e32 v123, v49
	;; [unrolled: 2-line block ×3, first 2 shown]
	v_lshlrev_b64_e32 v[42:43], 4, v[92:93]
	v_lshlrev_b64_e32 v[48:49], 4, v[72:73]
	;; [unrolled: 1-line block ×3, first 2 shown]
	v_add_f64_e64 v[80:81], v[54:55], -v[0:1]
	v_lshlrev_b64_e32 v[84:85], 4, v[90:91]
	v_lshlrev_b64_e32 v[90:91], 4, v[120:121]
	;; [unrolled: 1-line block ×3, first 2 shown]
	v_add_f64_e32 v[44:45], v[44:45], v[38:39]
	v_add_f64_e32 v[94:95], v[4:5], v[6:7]
	;; [unrolled: 1-line block ×3, first 2 shown]
	v_mul_f64_e32 v[128:129], s[14:15], v[2:3]
	v_mul_f64_e32 v[110:111], s[22:23], v[52:53]
	;; [unrolled: 1-line block ×3, first 2 shown]
	s_wait_alu 0xfffe
	v_mul_f64_e32 v[134:135], s[26:27], v[52:53]
	v_mul_f64_e32 v[126:127], s[16:17], v[52:53]
	v_add_f64_e32 v[40:41], v[40:41], v[34:35]
	v_mul_f64_e32 v[112:113], s[14:15], v[58:59]
	v_mul_f64_e32 v[114:115], s[14:15], v[62:63]
	v_lshlrev_b64_e32 v[78:79], 4, v[96:97]
	v_add_f64_e32 v[96:97], v[76:77], v[30:31]
	v_add_f64_e32 v[98:99], v[12:13], v[8:9]
	v_lshlrev_b64_e32 v[82:83], 4, v[88:89]
	v_lshlrev_b64_e32 v[88:89], 4, v[102:103]
	v_mul_f64_e32 v[122:123], s[14:15], v[74:75]
	v_add_f64_e32 v[20:21], v[36:37], v[21:22]
	v_add_f64_e32 v[25:26], v[56:57], v[25:26]
	;; [unrolled: 1-line block ×4, first 2 shown]
	v_mul_f64_e32 v[102:103], s[18:19], v[2:3]
	v_mul_f64_e32 v[138:139], s[26:27], v[2:3]
	;; [unrolled: 1-line block ×7, first 2 shown]
	s_mov_b32 s15, 0xbfed1bb4
	v_mul_f64_e32 v[132:133], s[26:27], v[14:15]
	v_mul_f64_e32 v[124:125], s[16:17], v[14:15]
	s_wait_alu 0xfffe
	v_mul_f64_e32 v[14:15], s[14:15], v[14:15]
	v_mul_f64_e32 v[52:53], s[14:15], v[52:53]
	;; [unrolled: 1-line block ×11, first 2 shown]
	v_fma_f64 v[184:185], v[44:45], s[20:21], -v[110:111]
	v_fma_f64 v[110:111], v[44:45], s[20:21], v[110:111]
	v_fma_f64 v[192:193], v[44:45], s[0:1], -v[134:135]
	v_fma_f64 v[134:135], v[44:45], s[0:1], v[134:135]
	;; [unrolled: 2-line block ×3, first 2 shown]
	v_mul_f64_e32 v[146:147], s[28:29], v[50:51]
	v_mul_f64_e32 v[2:3], s[16:17], v[2:3]
	;; [unrolled: 1-line block ×7, first 2 shown]
	v_add_f64_e32 v[4:5], v[4:5], v[20:21]
	v_add_f64_e32 v[25:26], v[76:77], v[25:26]
	v_mul_f64_e32 v[76:77], s[18:19], v[10:11]
	v_mul_f64_e32 v[10:11], s[14:15], v[10:11]
	;; [unrolled: 1-line block ×4, first 2 shown]
	v_fma_f64 v[176:177], v[36:37], s[4:5], v[102:103]
	v_fma_f64 v[180:181], v[66:67], s[20:21], v[106:107]
	v_fma_f64 v[106:107], v[66:67], s[20:21], -v[106:107]
	v_fma_f64 v[186:187], v[66:67], s[4:5], v[116:117]
	v_fma_f64 v[116:117], v[66:67], s[4:5], -v[116:117]
	v_fma_f64 v[102:103], v[36:37], s[4:5], -v[102:103]
	v_fma_f64 v[190:191], v[66:67], s[0:1], v[132:133]
	v_fma_f64 v[132:133], v[66:67], s[0:1], -v[132:133]
	v_fma_f64 v[200:201], v[66:67], s[2:3], v[14:15]
	v_fma_f64 v[202:203], v[44:45], s[2:3], -v[52:53]
	v_fma_f64 v[14:15], v[66:67], s[2:3], -v[14:15]
	;; [unrolled: 5-line block ×3, first 2 shown]
	v_fma_f64 v[136:137], v[40:41], s[0:1], v[136:137]
	v_fma_f64 v[212:213], v[40:41], s[6:7], -v[148:149]
	v_fma_f64 v[148:149], v[40:41], s[6:7], v[148:149]
	v_add_f64_e32 v[184:185], v[68:69], v[184:185]
	v_add_f64_e32 v[110:111], v[68:69], v[110:111]
	;; [unrolled: 1-line block ×6, first 2 shown]
	v_fma_f64 v[182:183], v[56:57], s[4:5], -v[108:109]
	v_fma_f64 v[108:109], v[56:57], s[4:5], v[108:109]
	v_fma_f64 v[194:195], v[36:37], s[0:1], v[138:139]
	v_fma_f64 v[138:139], v[36:37], s[0:1], -v[138:139]
	v_mul_f64_e32 v[164:165], s[24:25], v[62:63]
	v_mul_f64_e32 v[58:59], s[18:19], v[58:59]
	;; [unrolled: 1-line block ×3, first 2 shown]
	v_add_f64_e32 v[4:5], v[12:13], v[4:5]
	v_add_f64_e32 v[16:17], v[16:17], v[25:26]
	v_fma_f64 v[12:13], v[44:45], s[4:5], -v[118:119]
	v_fma_f64 v[118:119], v[44:45], s[4:5], v[118:119]
	v_fma_f64 v[44:45], v[44:45], s[2:3], v[52:53]
	;; [unrolled: 1-line block ×3, first 2 shown]
	v_fma_f64 v[124:125], v[66:67], s[6:7], -v[124:125]
	v_fma_f64 v[208:209], v[54:55], s[4:5], v[76:77]
	v_add_f64_e32 v[106:107], v[70:71], v[106:107]
	v_add_f64_e32 v[186:187], v[70:71], v[186:187]
	;; [unrolled: 1-line block ×3, first 2 shown]
	v_fma_f64 v[76:77], v[54:55], s[4:5], -v[76:77]
	v_fma_f64 v[66:67], v[54:55], s[20:21], v[142:143]
	v_add_f64_e32 v[132:133], v[70:71], v[132:133]
	v_fma_f64 v[142:143], v[54:55], s[20:21], -v[142:143]
	v_add_f64_e32 v[202:203], v[68:69], v[202:203]
	v_add_f64_e32 v[14:15], v[70:71], v[14:15]
	;; [unrolled: 1-line block ×5, first 2 shown]
	v_fma_f64 v[198:199], v[56:57], s[0:1], -v[20:21]
	v_fma_f64 v[20:21], v[56:57], s[0:1], v[20:21]
	v_fma_f64 v[52:53], v[36:37], s[2:3], v[128:129]
	v_fma_f64 v[128:129], v[36:37], s[2:3], -v[128:129]
	v_fma_f64 v[206:207], v[36:37], s[20:21], v[144:145]
	v_fma_f64 v[144:145], v[36:37], s[20:21], -v[144:145]
	v_add_f64_e32 v[110:111], v[136:137], v[110:111]
	v_fma_f64 v[204:205], v[56:57], s[2:3], -v[130:131]
	v_fma_f64 v[130:131], v[56:57], s[2:3], v[130:131]
	v_add_f64_e32 v[184:185], v[210:211], v[184:185]
	v_mul_f64_e32 v[166:167], s[16:17], v[23:24]
	v_mul_f64_e32 v[170:171], s[18:19], v[23:24]
	;; [unrolled: 1-line block ×6, first 2 shown]
	v_fma_f64 v[136:137], v[96:97], s[20:21], -v[156:157]
	v_fma_f64 v[156:157], v[96:97], s[20:21], v[156:157]
	v_add_f64_e32 v[4:5], v[8:9], v[4:5]
	v_add_f64_e32 v[16:17], v[18:19], v[16:17]
	v_fma_f64 v[8:9], v[54:55], s[2:3], -v[10:11]
	v_fma_f64 v[18:19], v[40:41], s[2:3], v[80:81]
	v_add_f64_e32 v[12:13], v[68:69], v[12:13]
	v_add_f64_e32 v[118:119], v[68:69], v[118:119]
	;; [unrolled: 1-line block ×3, first 2 shown]
	v_fma_f64 v[68:69], v[40:41], s[4:5], v[152:153]
	v_add_f64_e32 v[25:26], v[70:71], v[25:26]
	v_add_f64_e32 v[124:125], v[70:71], v[124:125]
	v_fma_f64 v[70:71], v[40:41], s[20:21], v[150:151]
	v_fma_f64 v[150:151], v[40:41], s[20:21], -v[150:151]
	v_fma_f64 v[80:81], v[40:41], s[2:3], -v[80:81]
	;; [unrolled: 1-line block ×3, first 2 shown]
	v_fma_f64 v[10:11], v[54:55], s[2:3], v[10:11]
	v_add_f64_e32 v[104:105], v[104:105], v[106:107]
	v_add_f64_e32 v[186:187], v[196:197], v[186:187]
	;; [unrolled: 1-line block ×3, first 2 shown]
	v_fma_f64 v[152:153], v[36:37], s[6:7], v[2:3]
	v_fma_f64 v[2:3], v[36:37], s[6:7], -v[2:3]
	v_fma_f64 v[36:37], v[56:57], s[6:7], -v[50:51]
	v_fma_f64 v[50:51], v[56:57], s[6:7], v[50:51]
	v_fma_f64 v[54:55], v[56:57], s[20:21], -v[146:147]
	v_fma_f64 v[146:147], v[56:57], s[20:21], v[146:147]
	v_add_f64_e32 v[14:15], v[76:77], v[14:15]
	v_add_f64_e32 v[178:179], v[178:179], v[180:181]
	v_fma_f64 v[106:107], v[94:95], s[20:21], v[154:155]
	v_fma_f64 v[154:155], v[94:95], s[20:21], -v[154:155]
	v_mul_f64_e32 v[56:57], s[12:13], v[74:75]
	v_mul_f64_e32 v[74:75], s[22:23], v[74:75]
	v_fma_f64 v[180:181], v[94:95], s[2:3], v[112:113]
	v_fma_f64 v[112:113], v[94:95], s[2:3], -v[112:113]
	v_fma_f64 v[76:77], v[94:95], s[0:1], -v[158:159]
	v_fma_f64 v[140:141], v[96:97], s[6:7], v[164:165]
	v_fma_f64 v[210:211], v[96:97], s[2:3], -v[114:115]
	v_fma_f64 v[114:115], v[96:97], s[2:3], v[114:115]
	v_lshlrev_b64_e32 v[64:65], 4, v[64:65]
	v_add_f64_e32 v[4:5], v[6:7], v[4:5]
	v_add_f64_e32 v[6:7], v[30:31], v[16:17]
	;; [unrolled: 1-line block ×6, first 2 shown]
	v_fma_f64 v[134:135], v[94:95], s[6:7], -v[162:163]
	v_add_f64_e32 v[16:17], v[68:69], v[44:45]
	v_add_f64_e32 v[24:25], v[66:67], v[25:26]
	;; [unrolled: 1-line block ×13, first 2 shown]
	v_fma_f64 v[68:69], v[94:95], s[0:1], v[158:159]
	v_fma_f64 v[126:127], v[94:95], s[6:7], v[162:163]
	;; [unrolled: 1-line block ×3, first 2 shown]
	v_fma_f64 v[58:59], v[94:95], s[4:5], -v[58:59]
	v_fma_f64 v[94:95], v[96:97], s[4:5], -v[62:63]
	v_fma_f64 v[62:63], v[96:97], s[4:5], v[62:63]
	v_add_f64_e32 v[14:15], v[144:145], v[14:15]
	v_fma_f64 v[80:81], v[96:97], s[0:1], v[160:161]
	v_fma_f64 v[70:71], v[96:97], s[0:1], -v[160:161]
	v_add_f64_e32 v[160:161], v[176:177], v[178:179]
	v_add_f64_e32 v[162:163], v[182:183], v[184:185]
	v_fma_f64 v[132:133], v[96:97], s[6:7], -v[164:165]
	v_fma_f64 v[150:151], v[98:99], s[6:7], -v[166:167]
	v_fma_f64 v[158:159], v[100:101], s[6:7], v[168:169]
	v_fma_f64 v[96:97], v[98:99], s[6:7], v[166:167]
	v_fma_f64 v[148:149], v[100:101], s[6:7], -v[168:169]
	v_add_f64_e32 v[4:5], v[32:33], v[4:5]
	v_add_f64_e32 v[6:7], v[60:61], v[6:7]
	;; [unrolled: 1-line block ×6, first 2 shown]
	v_fma_f64 v[118:119], v[100:101], s[4:5], v[172:173]
	v_add_f64_e32 v[16:17], v[146:147], v[16:17]
	v_add_f64_e32 v[24:25], v[52:53], v[24:25]
	;; [unrolled: 1-line block ×9, first 2 shown]
	v_fma_f64 v[44:45], v[100:101], s[2:3], -v[122:123]
	v_fma_f64 v[52:53], v[100:101], s[2:3], v[122:123]
	v_add_f64_e32 v[106:107], v[106:107], v[108:109]
	v_add_f64_e32 v[108:109], v[154:155], v[110:111]
	v_fma_f64 v[128:129], v[98:99], s[20:21], v[22:23]
	v_fma_f64 v[130:131], v[100:101], s[20:21], -v[74:75]
	v_fma_f64 v[22:23], v[98:99], s[20:21], -v[22:23]
	v_fma_f64 v[74:75], v[100:101], s[20:21], v[74:75]
	v_fma_f64 v[122:123], v[100:101], s[0:1], -v[56:57]
	v_fma_f64 v[124:125], v[98:99], s[0:1], -v[174:175]
	v_fma_f64 v[56:57], v[100:101], s[0:1], v[56:57]
	v_add_f64_e32 v[102:103], v[112:113], v[102:103]
	v_add_f64_e32 v[112:113], v[134:135], v[14:15]
	v_fma_f64 v[66:67], v[98:99], s[4:5], -v[170:171]
	v_fma_f64 v[50:51], v[98:99], s[2:3], -v[120:121]
	v_add_f64_e32 v[104:105], v[114:115], v[104:105]
	v_fma_f64 v[40:41], v[98:99], s[2:3], v[120:121]
	v_fma_f64 v[54:55], v[98:99], s[4:5], v[170:171]
	v_fma_f64 v[60:61], v[100:101], s[4:5], -v[172:173]
	v_fma_f64 v[120:121], v[98:99], s[0:1], v[174:175]
	v_add_f64_e32 v[98:99], v[180:181], v[160:161]
	v_add_f64_e32 v[100:101], v[210:211], v[162:163]
	;; [unrolled: 1-line block ×17, first 2 shown]
	v_add_co_u32 v132, vcc_lo, v46, v42
	s_wait_alu 0xfffd
	v_add_co_ci_u32_e32 v133, vcc_lo, v47, v43, vcc_lo
	v_add_co_u32 v48, vcc_lo, v46, v48
	s_wait_alu 0xfffd
	v_add_co_ci_u32_e32 v49, vcc_lo, v47, v49, vcc_lo
	;; [unrolled: 3-line block ×3, first 2 shown]
	v_add_f64_e32 v[30:31], v[124:125], v[112:113]
	v_add_f64_e32 v[6:7], v[150:151], v[102:103]
	;; [unrolled: 1-line block ×5, first 2 shown]
	v_add_co_u32 v78, vcc_lo, v46, v78
	s_wait_alu 0xfffd
	v_add_co_ci_u32_e32 v79, vcc_lo, v47, v79, vcc_lo
	v_add_f64_e32 v[2:3], v[96:97], v[98:99]
	v_add_f64_e32 v[26:27], v[28:29], v[110:111]
	;; [unrolled: 1-line block ×17, first 2 shown]
	v_add_co_u32 v44, vcc_lo, v46, v82
	s_wait_alu 0xfffd
	v_add_co_ci_u32_e32 v45, vcc_lo, v47, v83, vcc_lo
	v_add_co_u32 v50, vcc_lo, v46, v64
	s_wait_alu 0xfffd
	v_add_co_ci_u32_e32 v51, vcc_lo, v47, v65, vcc_lo
	;; [unrolled: 3-line block ×7, first 2 shown]
	s_clause 0xa
	global_store_b128 v[132:133], v[24:27], off
	global_store_b128 v[48:49], v[20:23], off
	global_store_b128 v[72:73], v[28:31], off
	global_store_b128 v[78:79], v[16:19], off
	global_store_b128 v[44:45], v[12:15], off
	global_store_b128 v[50:51], v[4:7], off
	global_store_b128 v[52:53], v[0:3], off
	global_store_b128 v[54:55], v[8:11], off
	global_store_b128 v[56:57], v[32:35], off
	global_store_b128 v[58:59], v[40:43], off
	global_store_b128 v[46:47], v[36:39], off
.LBB0_23:
	s_nop 0
	s_sendmsg sendmsg(MSG_DEALLOC_VGPRS)
	s_endpgm
	.section	.rodata,"a",@progbits
	.p2align	6, 0x0
	.amdhsa_kernel fft_rtc_back_len1815_factors_11_3_5_11_wgs_165_tpt_165_dp_ip_CI_sbrr_dirReg
		.amdhsa_group_segment_fixed_size 0
		.amdhsa_private_segment_fixed_size 0
		.amdhsa_kernarg_size 88
		.amdhsa_user_sgpr_count 2
		.amdhsa_user_sgpr_dispatch_ptr 0
		.amdhsa_user_sgpr_queue_ptr 0
		.amdhsa_user_sgpr_kernarg_segment_ptr 1
		.amdhsa_user_sgpr_dispatch_id 0
		.amdhsa_user_sgpr_private_segment_size 0
		.amdhsa_wavefront_size32 1
		.amdhsa_uses_dynamic_stack 0
		.amdhsa_enable_private_segment 0
		.amdhsa_system_sgpr_workgroup_id_x 1
		.amdhsa_system_sgpr_workgroup_id_y 0
		.amdhsa_system_sgpr_workgroup_id_z 0
		.amdhsa_system_sgpr_workgroup_info 0
		.amdhsa_system_vgpr_workitem_id 0
		.amdhsa_next_free_vgpr 214
		.amdhsa_next_free_sgpr 35
		.amdhsa_reserve_vcc 1
		.amdhsa_float_round_mode_32 0
		.amdhsa_float_round_mode_16_64 0
		.amdhsa_float_denorm_mode_32 3
		.amdhsa_float_denorm_mode_16_64 3
		.amdhsa_fp16_overflow 0
		.amdhsa_workgroup_processor_mode 1
		.amdhsa_memory_ordered 1
		.amdhsa_forward_progress 0
		.amdhsa_round_robin_scheduling 0
		.amdhsa_exception_fp_ieee_invalid_op 0
		.amdhsa_exception_fp_denorm_src 0
		.amdhsa_exception_fp_ieee_div_zero 0
		.amdhsa_exception_fp_ieee_overflow 0
		.amdhsa_exception_fp_ieee_underflow 0
		.amdhsa_exception_fp_ieee_inexact 0
		.amdhsa_exception_int_div_zero 0
	.end_amdhsa_kernel
	.text
.Lfunc_end0:
	.size	fft_rtc_back_len1815_factors_11_3_5_11_wgs_165_tpt_165_dp_ip_CI_sbrr_dirReg, .Lfunc_end0-fft_rtc_back_len1815_factors_11_3_5_11_wgs_165_tpt_165_dp_ip_CI_sbrr_dirReg
                                        ; -- End function
	.section	.AMDGPU.csdata,"",@progbits
; Kernel info:
; codeLenInByte = 10828
; NumSgprs: 37
; NumVgprs: 214
; ScratchSize: 0
; MemoryBound: 1
; FloatMode: 240
; IeeeMode: 1
; LDSByteSize: 0 bytes/workgroup (compile time only)
; SGPRBlocks: 4
; VGPRBlocks: 26
; NumSGPRsForWavesPerEU: 37
; NumVGPRsForWavesPerEU: 214
; Occupancy: 7
; WaveLimiterHint : 1
; COMPUTE_PGM_RSRC2:SCRATCH_EN: 0
; COMPUTE_PGM_RSRC2:USER_SGPR: 2
; COMPUTE_PGM_RSRC2:TRAP_HANDLER: 0
; COMPUTE_PGM_RSRC2:TGID_X_EN: 1
; COMPUTE_PGM_RSRC2:TGID_Y_EN: 0
; COMPUTE_PGM_RSRC2:TGID_Z_EN: 0
; COMPUTE_PGM_RSRC2:TIDIG_COMP_CNT: 0
	.text
	.p2alignl 7, 3214868480
	.fill 96, 4, 3214868480
	.type	__hip_cuid_aeb8aaf8fb1c1028,@object ; @__hip_cuid_aeb8aaf8fb1c1028
	.section	.bss,"aw",@nobits
	.globl	__hip_cuid_aeb8aaf8fb1c1028
__hip_cuid_aeb8aaf8fb1c1028:
	.byte	0                               ; 0x0
	.size	__hip_cuid_aeb8aaf8fb1c1028, 1

	.ident	"AMD clang version 19.0.0git (https://github.com/RadeonOpenCompute/llvm-project roc-6.4.0 25133 c7fe45cf4b819c5991fe208aaa96edf142730f1d)"
	.section	".note.GNU-stack","",@progbits
	.addrsig
	.addrsig_sym __hip_cuid_aeb8aaf8fb1c1028
	.amdgpu_metadata
---
amdhsa.kernels:
  - .args:
      - .actual_access:  read_only
        .address_space:  global
        .offset:         0
        .size:           8
        .value_kind:     global_buffer
      - .offset:         8
        .size:           8
        .value_kind:     by_value
      - .actual_access:  read_only
        .address_space:  global
        .offset:         16
        .size:           8
        .value_kind:     global_buffer
      - .actual_access:  read_only
        .address_space:  global
        .offset:         24
        .size:           8
        .value_kind:     global_buffer
      - .offset:         32
        .size:           8
        .value_kind:     by_value
      - .actual_access:  read_only
        .address_space:  global
        .offset:         40
        .size:           8
        .value_kind:     global_buffer
      - .actual_access:  read_only
        .address_space:  global
        .offset:         48
        .size:           8
        .value_kind:     global_buffer
      - .offset:         56
        .size:           4
        .value_kind:     by_value
      - .actual_access:  read_only
        .address_space:  global
        .offset:         64
        .size:           8
        .value_kind:     global_buffer
      - .actual_access:  read_only
        .address_space:  global
        .offset:         72
        .size:           8
        .value_kind:     global_buffer
      - .address_space:  global
        .offset:         80
        .size:           8
        .value_kind:     global_buffer
    .group_segment_fixed_size: 0
    .kernarg_segment_align: 8
    .kernarg_segment_size: 88
    .language:       OpenCL C
    .language_version:
      - 2
      - 0
    .max_flat_workgroup_size: 165
    .name:           fft_rtc_back_len1815_factors_11_3_5_11_wgs_165_tpt_165_dp_ip_CI_sbrr_dirReg
    .private_segment_fixed_size: 0
    .sgpr_count:     37
    .sgpr_spill_count: 0
    .symbol:         fft_rtc_back_len1815_factors_11_3_5_11_wgs_165_tpt_165_dp_ip_CI_sbrr_dirReg.kd
    .uniform_work_group_size: 1
    .uses_dynamic_stack: false
    .vgpr_count:     214
    .vgpr_spill_count: 0
    .wavefront_size: 32
    .workgroup_processor_mode: 1
amdhsa.target:   amdgcn-amd-amdhsa--gfx1201
amdhsa.version:
  - 1
  - 2
...

	.end_amdgpu_metadata
